;; amdgpu-corpus repo=ROCm/rocFFT kind=compiled arch=gfx1201 opt=O3
	.text
	.amdgcn_target "amdgcn-amd-amdhsa--gfx1201"
	.amdhsa_code_object_version 6
	.protected	fft_rtc_back_len338_factors_13_2_13_wgs_52_tpt_26_halfLds_dp_ip_CI_unitstride_sbrr_R2C_dirReg ; -- Begin function fft_rtc_back_len338_factors_13_2_13_wgs_52_tpt_26_halfLds_dp_ip_CI_unitstride_sbrr_R2C_dirReg
	.globl	fft_rtc_back_len338_factors_13_2_13_wgs_52_tpt_26_halfLds_dp_ip_CI_unitstride_sbrr_R2C_dirReg
	.p2align	8
	.type	fft_rtc_back_len338_factors_13_2_13_wgs_52_tpt_26_halfLds_dp_ip_CI_unitstride_sbrr_R2C_dirReg,@function
fft_rtc_back_len338_factors_13_2_13_wgs_52_tpt_26_halfLds_dp_ip_CI_unitstride_sbrr_R2C_dirReg: ; @fft_rtc_back_len338_factors_13_2_13_wgs_52_tpt_26_halfLds_dp_ip_CI_unitstride_sbrr_R2C_dirReg
; %bb.0:
	s_clause 0x2
	s_load_b128 s[4:7], s[0:1], 0x0
	s_load_b64 s[8:9], s[0:1], 0x50
	s_load_b64 s[10:11], s[0:1], 0x18
	v_mul_u32_u24_e32 v1, 0x9d9, v0
	v_mov_b32_e32 v3, 0
	s_delay_alu instid0(VALU_DEP_2) | instskip(SKIP_2) | instid1(VALU_DEP_4)
	v_lshrrev_b32_e32 v9, 16, v1
	v_mov_b32_e32 v1, 0
	v_mov_b32_e32 v2, 0
	;; [unrolled: 1-line block ×3, first 2 shown]
	s_delay_alu instid0(VALU_DEP_4) | instskip(SKIP_2) | instid1(VALU_DEP_1)
	v_lshl_add_u32 v5, ttmp9, 1, v9
	s_wait_kmcnt 0x0
	v_cmp_lt_u64_e64 s2, s[6:7], 2
	s_and_b32 vcc_lo, exec_lo, s2
	s_cbranch_vccnz .LBB0_8
; %bb.1:
	s_load_b64 s[2:3], s[0:1], 0x10
	v_mov_b32_e32 v1, 0
	v_mov_b32_e32 v2, 0
	s_add_nc_u64 s[12:13], s[10:11], 8
	s_mov_b64 s[14:15], 1
	s_wait_kmcnt 0x0
	s_add_nc_u64 s[16:17], s[2:3], 8
	s_mov_b32 s3, 0
.LBB0_2:                                ; =>This Inner Loop Header: Depth=1
	s_load_b64 s[18:19], s[16:17], 0x0
                                        ; implicit-def: $vgpr7_vgpr8
	s_mov_b32 s2, exec_lo
	s_wait_kmcnt 0x0
	v_or_b32_e32 v4, s19, v6
	s_delay_alu instid0(VALU_DEP_1)
	v_cmpx_ne_u64_e32 0, v[3:4]
	s_wait_alu 0xfffe
	s_xor_b32 s20, exec_lo, s2
	s_cbranch_execz .LBB0_4
; %bb.3:                                ;   in Loop: Header=BB0_2 Depth=1
	s_cvt_f32_u32 s2, s18
	s_cvt_f32_u32 s21, s19
	s_sub_nc_u64 s[24:25], 0, s[18:19]
	s_wait_alu 0xfffe
	s_delay_alu instid0(SALU_CYCLE_1) | instskip(SKIP_1) | instid1(SALU_CYCLE_2)
	s_fmamk_f32 s2, s21, 0x4f800000, s2
	s_wait_alu 0xfffe
	v_s_rcp_f32 s2, s2
	s_delay_alu instid0(TRANS32_DEP_1) | instskip(SKIP_1) | instid1(SALU_CYCLE_2)
	s_mul_f32 s2, s2, 0x5f7ffffc
	s_wait_alu 0xfffe
	s_mul_f32 s21, s2, 0x2f800000
	s_wait_alu 0xfffe
	s_delay_alu instid0(SALU_CYCLE_2) | instskip(SKIP_1) | instid1(SALU_CYCLE_2)
	s_trunc_f32 s21, s21
	s_wait_alu 0xfffe
	s_fmamk_f32 s2, s21, 0xcf800000, s2
	s_cvt_u32_f32 s23, s21
	s_wait_alu 0xfffe
	s_delay_alu instid0(SALU_CYCLE_1) | instskip(SKIP_1) | instid1(SALU_CYCLE_2)
	s_cvt_u32_f32 s22, s2
	s_wait_alu 0xfffe
	s_mul_u64 s[26:27], s[24:25], s[22:23]
	s_wait_alu 0xfffe
	s_mul_hi_u32 s29, s22, s27
	s_mul_i32 s28, s22, s27
	s_mul_hi_u32 s2, s22, s26
	s_mul_i32 s30, s23, s26
	s_wait_alu 0xfffe
	s_add_nc_u64 s[28:29], s[2:3], s[28:29]
	s_mul_hi_u32 s21, s23, s26
	s_mul_hi_u32 s31, s23, s27
	s_add_co_u32 s2, s28, s30
	s_wait_alu 0xfffe
	s_add_co_ci_u32 s2, s29, s21
	s_mul_i32 s26, s23, s27
	s_add_co_ci_u32 s27, s31, 0
	s_wait_alu 0xfffe
	s_add_nc_u64 s[26:27], s[2:3], s[26:27]
	s_wait_alu 0xfffe
	v_add_co_u32 v4, s2, s22, s26
	s_delay_alu instid0(VALU_DEP_1) | instskip(SKIP_1) | instid1(VALU_DEP_1)
	s_cmp_lg_u32 s2, 0
	s_add_co_ci_u32 s23, s23, s27
	v_readfirstlane_b32 s22, v4
	s_wait_alu 0xfffe
	s_delay_alu instid0(VALU_DEP_1)
	s_mul_u64 s[24:25], s[24:25], s[22:23]
	s_wait_alu 0xfffe
	s_mul_hi_u32 s27, s22, s25
	s_mul_i32 s26, s22, s25
	s_mul_hi_u32 s2, s22, s24
	s_mul_i32 s28, s23, s24
	s_wait_alu 0xfffe
	s_add_nc_u64 s[26:27], s[2:3], s[26:27]
	s_mul_hi_u32 s21, s23, s24
	s_mul_hi_u32 s22, s23, s25
	s_wait_alu 0xfffe
	s_add_co_u32 s2, s26, s28
	s_add_co_ci_u32 s2, s27, s21
	s_mul_i32 s24, s23, s25
	s_add_co_ci_u32 s25, s22, 0
	s_wait_alu 0xfffe
	s_add_nc_u64 s[24:25], s[2:3], s[24:25]
	s_wait_alu 0xfffe
	v_add_co_u32 v4, s2, v4, s24
	s_delay_alu instid0(VALU_DEP_1) | instskip(SKIP_1) | instid1(VALU_DEP_1)
	s_cmp_lg_u32 s2, 0
	s_add_co_ci_u32 s2, s23, s25
	v_mul_hi_u32 v14, v5, v4
	s_wait_alu 0xfffe
	v_mad_co_u64_u32 v[7:8], null, v5, s2, 0
	v_mad_co_u64_u32 v[10:11], null, v6, v4, 0
	;; [unrolled: 1-line block ×3, first 2 shown]
	s_delay_alu instid0(VALU_DEP_3) | instskip(SKIP_1) | instid1(VALU_DEP_4)
	v_add_co_u32 v4, vcc_lo, v14, v7
	s_wait_alu 0xfffd
	v_add_co_ci_u32_e32 v7, vcc_lo, 0, v8, vcc_lo
	s_delay_alu instid0(VALU_DEP_2) | instskip(SKIP_1) | instid1(VALU_DEP_2)
	v_add_co_u32 v4, vcc_lo, v4, v10
	s_wait_alu 0xfffd
	v_add_co_ci_u32_e32 v4, vcc_lo, v7, v11, vcc_lo
	s_wait_alu 0xfffd
	v_add_co_ci_u32_e32 v7, vcc_lo, 0, v13, vcc_lo
	s_delay_alu instid0(VALU_DEP_2) | instskip(SKIP_1) | instid1(VALU_DEP_2)
	v_add_co_u32 v4, vcc_lo, v4, v12
	s_wait_alu 0xfffd
	v_add_co_ci_u32_e32 v10, vcc_lo, 0, v7, vcc_lo
	s_delay_alu instid0(VALU_DEP_2) | instskip(SKIP_1) | instid1(VALU_DEP_3)
	v_mul_lo_u32 v11, s19, v4
	v_mad_co_u64_u32 v[7:8], null, s18, v4, 0
	v_mul_lo_u32 v12, s18, v10
	s_delay_alu instid0(VALU_DEP_2) | instskip(NEXT) | instid1(VALU_DEP_2)
	v_sub_co_u32 v7, vcc_lo, v5, v7
	v_add3_u32 v8, v8, v12, v11
	s_delay_alu instid0(VALU_DEP_1) | instskip(SKIP_1) | instid1(VALU_DEP_1)
	v_sub_nc_u32_e32 v11, v6, v8
	s_wait_alu 0xfffd
	v_subrev_co_ci_u32_e64 v11, s2, s19, v11, vcc_lo
	v_add_co_u32 v12, s2, v4, 2
	s_wait_alu 0xf1ff
	v_add_co_ci_u32_e64 v13, s2, 0, v10, s2
	v_sub_co_u32 v14, s2, v7, s18
	v_sub_co_ci_u32_e32 v8, vcc_lo, v6, v8, vcc_lo
	s_wait_alu 0xf1ff
	v_subrev_co_ci_u32_e64 v11, s2, 0, v11, s2
	s_delay_alu instid0(VALU_DEP_3) | instskip(NEXT) | instid1(VALU_DEP_3)
	v_cmp_le_u32_e32 vcc_lo, s18, v14
	v_cmp_eq_u32_e64 s2, s19, v8
	s_wait_alu 0xfffd
	v_cndmask_b32_e64 v14, 0, -1, vcc_lo
	v_cmp_le_u32_e32 vcc_lo, s19, v11
	s_wait_alu 0xfffd
	v_cndmask_b32_e64 v15, 0, -1, vcc_lo
	v_cmp_le_u32_e32 vcc_lo, s18, v7
	;; [unrolled: 3-line block ×3, first 2 shown]
	s_wait_alu 0xfffd
	v_cndmask_b32_e64 v16, 0, -1, vcc_lo
	v_cmp_eq_u32_e32 vcc_lo, s19, v11
	s_wait_alu 0xf1ff
	s_delay_alu instid0(VALU_DEP_2)
	v_cndmask_b32_e64 v7, v16, v7, s2
	s_wait_alu 0xfffd
	v_cndmask_b32_e32 v11, v15, v14, vcc_lo
	v_add_co_u32 v14, vcc_lo, v4, 1
	s_wait_alu 0xfffd
	v_add_co_ci_u32_e32 v15, vcc_lo, 0, v10, vcc_lo
	s_delay_alu instid0(VALU_DEP_3) | instskip(SKIP_1) | instid1(VALU_DEP_2)
	v_cmp_ne_u32_e32 vcc_lo, 0, v11
	s_wait_alu 0xfffd
	v_dual_cndmask_b32 v8, v15, v13 :: v_dual_cndmask_b32 v11, v14, v12
	v_cmp_ne_u32_e32 vcc_lo, 0, v7
	s_wait_alu 0xfffd
	s_delay_alu instid0(VALU_DEP_2)
	v_dual_cndmask_b32 v8, v10, v8 :: v_dual_cndmask_b32 v7, v4, v11
.LBB0_4:                                ;   in Loop: Header=BB0_2 Depth=1
	s_wait_alu 0xfffe
	s_and_not1_saveexec_b32 s2, s20
	s_cbranch_execz .LBB0_6
; %bb.5:                                ;   in Loop: Header=BB0_2 Depth=1
	v_cvt_f32_u32_e32 v4, s18
	s_sub_co_i32 s20, 0, s18
	s_delay_alu instid0(VALU_DEP_1) | instskip(NEXT) | instid1(TRANS32_DEP_1)
	v_rcp_iflag_f32_e32 v4, v4
	v_mul_f32_e32 v4, 0x4f7ffffe, v4
	s_delay_alu instid0(VALU_DEP_1) | instskip(SKIP_1) | instid1(VALU_DEP_1)
	v_cvt_u32_f32_e32 v4, v4
	s_wait_alu 0xfffe
	v_mul_lo_u32 v7, s20, v4
	s_delay_alu instid0(VALU_DEP_1) | instskip(NEXT) | instid1(VALU_DEP_1)
	v_mul_hi_u32 v7, v4, v7
	v_add_nc_u32_e32 v4, v4, v7
	s_delay_alu instid0(VALU_DEP_1) | instskip(NEXT) | instid1(VALU_DEP_1)
	v_mul_hi_u32 v4, v5, v4
	v_mul_lo_u32 v7, v4, s18
	v_add_nc_u32_e32 v8, 1, v4
	s_delay_alu instid0(VALU_DEP_2) | instskip(NEXT) | instid1(VALU_DEP_1)
	v_sub_nc_u32_e32 v7, v5, v7
	v_subrev_nc_u32_e32 v10, s18, v7
	v_cmp_le_u32_e32 vcc_lo, s18, v7
	s_wait_alu 0xfffd
	s_delay_alu instid0(VALU_DEP_2) | instskip(NEXT) | instid1(VALU_DEP_1)
	v_dual_cndmask_b32 v7, v7, v10 :: v_dual_cndmask_b32 v4, v4, v8
	v_cmp_le_u32_e32 vcc_lo, s18, v7
	s_delay_alu instid0(VALU_DEP_2) | instskip(SKIP_1) | instid1(VALU_DEP_1)
	v_add_nc_u32_e32 v8, 1, v4
	s_wait_alu 0xfffd
	v_dual_cndmask_b32 v7, v4, v8 :: v_dual_mov_b32 v8, v3
.LBB0_6:                                ;   in Loop: Header=BB0_2 Depth=1
	s_wait_alu 0xfffe
	s_or_b32 exec_lo, exec_lo, s2
	s_load_b64 s[20:21], s[12:13], 0x0
	s_delay_alu instid0(VALU_DEP_1)
	v_mul_lo_u32 v4, v8, s18
	v_mul_lo_u32 v12, v7, s19
	v_mad_co_u64_u32 v[10:11], null, v7, s18, 0
	s_add_nc_u64 s[14:15], s[14:15], 1
	s_add_nc_u64 s[12:13], s[12:13], 8
	s_wait_alu 0xfffe
	v_cmp_ge_u64_e64 s2, s[14:15], s[6:7]
	s_add_nc_u64 s[16:17], s[16:17], 8
	s_delay_alu instid0(VALU_DEP_2) | instskip(NEXT) | instid1(VALU_DEP_3)
	v_add3_u32 v4, v11, v12, v4
	v_sub_co_u32 v5, vcc_lo, v5, v10
	s_wait_alu 0xfffd
	s_delay_alu instid0(VALU_DEP_2) | instskip(SKIP_3) | instid1(VALU_DEP_2)
	v_sub_co_ci_u32_e32 v4, vcc_lo, v6, v4, vcc_lo
	s_and_b32 vcc_lo, exec_lo, s2
	s_wait_kmcnt 0x0
	v_mul_lo_u32 v6, s21, v5
	v_mul_lo_u32 v4, s20, v4
	v_mad_co_u64_u32 v[1:2], null, s20, v5, v[1:2]
	s_delay_alu instid0(VALU_DEP_1)
	v_add3_u32 v2, v6, v2, v4
	s_wait_alu 0xfffe
	s_cbranch_vccnz .LBB0_9
; %bb.7:                                ;   in Loop: Header=BB0_2 Depth=1
	v_dual_mov_b32 v5, v7 :: v_dual_mov_b32 v6, v8
	s_branch .LBB0_2
.LBB0_8:
	v_dual_mov_b32 v8, v6 :: v_dual_mov_b32 v7, v5
.LBB0_9:
	s_lshl_b64 s[2:3], s[6:7], 3
	v_mul_hi_u32 v3, 0x9d89d8a, v0
	s_wait_alu 0xfffe
	s_add_nc_u64 s[2:3], s[10:11], s[2:3]
	s_load_b64 s[6:7], s[0:1], 0x20
	s_load_b64 s[2:3], s[2:3], 0x0
	v_and_b32_e32 v4, 1, v9
	s_delay_alu instid0(VALU_DEP_2) | instskip(NEXT) | instid1(VALU_DEP_2)
	v_mul_u32_u24_e32 v3, 26, v3
	v_cmp_eq_u32_e64 s0, 1, v4
	s_delay_alu instid0(VALU_DEP_2) | instskip(NEXT) | instid1(VALU_DEP_1)
	v_sub_nc_u32_e32 v56, v0, v3
	v_add_nc_u32_e32 v61, 26, v56
	v_add_nc_u32_e32 v66, 52, v56
	;; [unrolled: 1-line block ×4, first 2 shown]
	s_wait_kmcnt 0x0
	v_cmp_gt_u64_e32 vcc_lo, s[6:7], v[7:8]
	v_mul_lo_u32 v3, s2, v8
	v_mul_lo_u32 v4, s3, v7
	v_mad_co_u64_u32 v[0:1], null, s2, v7, v[1:2]
	v_cmp_le_u64_e64 s1, s[6:7], v[7:8]
	v_add_nc_u32_e32 v63, 0x82, v56
	v_add_nc_u32_e32 v60, 0x9c, v56
	s_delay_alu instid0(VALU_DEP_4) | instskip(NEXT) | instid1(VALU_DEP_4)
	v_add3_u32 v1, v4, v1, v3
	s_and_saveexec_b32 s2, s1
	s_wait_alu 0xfffe
	s_xor_b32 s1, exec_lo, s2
; %bb.10:
	v_add_nc_u32_e32 v61, 26, v56
	v_add_nc_u32_e32 v66, 52, v56
	;; [unrolled: 1-line block ×6, first 2 shown]
; %bb.11:
	s_wait_alu 0xfffe
	s_or_saveexec_b32 s1, s1
	v_cndmask_b32_e64 v2, 0, 0x153, s0
	v_lshlrev_b64_e32 v[0:1], 4, v[0:1]
	v_lshlrev_b32_e32 v62, 4, v56
	s_delay_alu instid0(VALU_DEP_3)
	v_lshlrev_b32_e32 v67, 4, v2
	scratch_store_b64 off, v[0:1], off      ; 8-byte Folded Spill
	s_wait_alu 0xfffe
	s_xor_b32 exec_lo, exec_lo, s1
	s_cbranch_execz .LBB0_13
; %bb.12:
	scratch_load_b64 v[2:3], off, off       ; 8-byte Folded Reload
	v_mov_b32_e32 v57, 0
	v_add3_u32 v52, 0, v67, v62
	s_delay_alu instid0(VALU_DEP_2) | instskip(SKIP_4) | instid1(VALU_DEP_2)
	v_lshlrev_b64_e32 v[0:1], 4, v[56:57]
	s_wait_loadcnt 0x0
	v_add_co_u32 v2, s0, s8, v2
	s_wait_alu 0xf1ff
	v_add_co_ci_u32_e64 v3, s0, s9, v3, s0
	v_add_co_u32 v48, s0, v2, v0
	s_wait_alu 0xf1ff
	s_delay_alu instid0(VALU_DEP_2)
	v_add_co_ci_u32_e64 v49, s0, v3, v1, s0
	s_clause 0xc
	global_load_b128 v[0:3], v[48:49], off
	global_load_b128 v[4:7], v[48:49], off offset:416
	global_load_b128 v[8:11], v[48:49], off offset:832
	;; [unrolled: 1-line block ×12, first 2 shown]
	s_wait_loadcnt 0xc
	ds_store_b128 v52, v[0:3]
	s_wait_loadcnt 0xb
	ds_store_b128 v52, v[4:7] offset:416
	s_wait_loadcnt 0xa
	ds_store_b128 v52, v[8:11] offset:832
	;; [unrolled: 2-line block ×12, first 2 shown]
.LBB0_13:
	s_or_b32 exec_lo, exec_lo, s1
	v_add_nc_u32_e32 v126, 0, v67
	v_add3_u32 v57, 0, v62, v67
	global_wb scope:SCOPE_SE
	s_wait_storecnt_dscnt 0x0
	s_barrier_signal -1
	s_barrier_wait -1
	v_add_nc_u32_e32 v125, v126, v62
	global_inv scope:SCOPE_SE
	s_mov_b32 s2, 0x42a4c3d2
	s_mov_b32 s18, 0x1ea71119
	;; [unrolled: 1-line block ×3, first 2 shown]
	ds_load_b128 v[0:3], v125
	ds_load_b128 v[16:19], v57 offset:416
	ds_load_b128 v[24:27], v57 offset:832
	;; [unrolled: 1-line block ×4, first 2 shown]
	s_mov_b32 s0, 0x66966769
	s_mov_b32 s19, 0x3fe22d96
	;; [unrolled: 1-line block ×17, first 2 shown]
	s_wait_dscnt 0x3
	v_add_f64_e32 v[6:7], v[2:3], v[18:19]
	v_add_f64_e32 v[4:5], v[0:1], v[16:17]
	s_mov_b32 s13, 0xbfddbe06
	s_mov_b32 s15, 0xbfcea1e5
	;; [unrolled: 1-line block ×5, first 2 shown]
	s_wait_alu 0xfffe
	s_mov_b32 s28, s2
	s_mov_b32 s37, 0x3fefc445
	;; [unrolled: 1-line block ×11, first 2 shown]
	s_wait_dscnt 0x2
	s_delay_alu instid0(VALU_DEP_2) | instskip(NEXT) | instid1(VALU_DEP_2)
	v_add_f64_e32 v[6:7], v[6:7], v[26:27]
	v_add_f64_e32 v[4:5], v[4:5], v[24:25]
	s_wait_dscnt 0x1
	s_delay_alu instid0(VALU_DEP_2) | instskip(NEXT) | instid1(VALU_DEP_2)
	v_add_f64_e32 v[10:11], v[6:7], v[22:23]
	v_add_f64_e32 v[8:9], v[4:5], v[20:21]
	ds_load_b128 v[32:35], v57 offset:2080
	ds_load_b128 v[12:15], v57 offset:4160
	;; [unrolled: 1-line block ×7, first 2 shown]
	s_wait_dscnt 0x5
	v_add_f64_e64 v[86:87], v[22:23], -v[14:15]
	v_add_f64_e32 v[88:89], v[22:23], v[14:15]
	v_add_f64_e32 v[104:105], v[20:21], v[12:13]
	v_add_f64_e64 v[106:107], v[20:21], -v[12:13]
	s_wait_dscnt 0x0
	v_add_f64_e64 v[46:47], v[78:79], -v[82:83]
	v_add_f64_e32 v[40:41], v[78:79], v[82:83]
	v_add_f64_e32 v[22:23], v[76:77], v[80:81]
	v_add_f64_e64 v[20:21], v[76:77], -v[80:81]
	v_add_f64_e64 v[54:55], v[26:27], -v[6:7]
	v_add_f64_e32 v[84:85], v[26:27], v[6:7]
	v_add_f64_e32 v[100:101], v[24:25], v[4:5]
	v_add_f64_e64 v[102:103], v[24:25], -v[4:5]
	;; [unrolled: 4-line block ×3, first 2 shown]
	v_add_f64_e64 v[90:91], v[30:31], -v[74:75]
	v_add_f64_e32 v[92:93], v[30:31], v[74:75]
	v_add_f64_e32 v[38:39], v[10:11], v[30:31]
	;; [unrolled: 1-line block ×3, first 2 shown]
	ds_load_b128 v[8:11], v57 offset:4992
	v_add_f64_e32 v[30:31], v[28:29], v[72:73]
	v_add_f64_e64 v[28:29], v[28:29], -v[72:73]
	global_wb scope:SCOPE_SE
	s_wait_dscnt 0x0
	s_barrier_signal -1
	s_barrier_wait -1
	global_inv scope:SCOPE_SE
	v_mul_f64_e32 v[197:198], s[6:7], v[86:87]
	v_mul_f64_e32 v[199:200], s[20:21], v[88:89]
	;; [unrolled: 1-line block ×3, first 2 shown]
	v_add_f64_e64 v[108:109], v[18:19], -v[10:11]
	v_add_f64_e32 v[110:111], v[18:19], v[10:11]
	v_add_f64_e32 v[112:113], v[16:17], v[8:9]
	v_add_f64_e64 v[114:115], v[16:17], -v[8:9]
	v_mul_f64_e32 v[122:123], s[24:25], v[88:89]
	v_mul_f64_e32 v[116:117], s[10:11], v[54:55]
	;; [unrolled: 1-line block ×9, first 2 shown]
	s_wait_alu 0xfffe
	v_mul_f64_e32 v[189:190], s[26:27], v[54:55]
	v_mul_f64_e32 v[195:196], s[16:17], v[84:85]
	;; [unrolled: 1-line block ×3, first 2 shown]
	v_add_f64_e32 v[98:99], v[38:39], v[34:35]
	v_add_f64_e32 v[96:97], v[36:37], v[32:33]
	v_mul_f64_e32 v[84:85], s[18:19], v[84:85]
	v_mul_f64_e32 v[133:134], s[34:35], v[88:89]
	;; [unrolled: 1-line block ×19, first 2 shown]
	v_fma_f64 v[201:202], v[104:105], s[24:25], v[120:121]
	v_mul_f64_e32 v[167:168], s[2:3], v[108:109]
	v_mul_f64_e32 v[169:170], s[18:19], v[110:111]
	;; [unrolled: 1-line block ×12, first 2 shown]
	v_fma_f64 v[205:206], v[100:101], s[24:25], v[127:128]
	v_fma_f64 v[207:208], v[102:103], s[30:31], v[129:130]
	;; [unrolled: 1-line block ×4, first 2 shown]
	v_add_f64_e32 v[78:79], v[98:99], v[78:79]
	v_add_f64_e32 v[76:77], v[96:97], v[76:77]
	v_mul_f64_e32 v[98:99], s[16:17], v[88:89]
	v_mul_f64_e32 v[96:97], s[26:27], v[86:87]
	v_fma_f64 v[245:246], v[100:101], s[16:17], v[189:190]
	v_fma_f64 v[157:158], v[102:103], s[36:37], v[157:158]
	v_mul_f64_e32 v[86:87], s[0:1], v[86:87]
	v_fma_f64 v[127:128], v[100:101], s[24:25], -v[127:128]
	v_fma_f64 v[129:130], v[102:103], s[14:15], v[129:130]
	v_fma_f64 v[203:204], v[106:107], s[30:31], v[122:123]
	;; [unrolled: 1-line block ×6, first 2 shown]
	v_fma_f64 v[163:164], v[104:105], s[18:19], -v[163:164]
	v_fma_f64 v[165:166], v[106:107], s[2:3], v[165:166]
	v_fma_f64 v[120:121], v[104:105], s[24:25], -v[120:121]
	v_fma_f64 v[131:132], v[104:105], s[34:35], -v[131:132]
	v_fma_f64 v[122:123], v[106:107], s[14:15], v[122:123]
	v_fma_f64 v[133:134], v[106:107], s[40:41], v[133:134]
	v_mul_f64_e32 v[179:180], s[26:27], v[94:95]
	v_mul_f64_e32 v[181:182], s[16:17], v[52:53]
	v_fma_f64 v[219:220], v[112:113], s[18:19], v[167:168]
	v_fma_f64 v[221:222], v[114:115], s[28:29], v[169:170]
	;; [unrolled: 1-line block ×9, first 2 shown]
	v_fma_f64 v[159:160], v[112:113], s[16:17], -v[159:160]
	v_fma_f64 v[167:168], v[112:113], s[18:19], -v[167:168]
	;; [unrolled: 1-line block ×5, first 2 shown]
	v_fma_f64 v[235:236], v[112:113], s[24:25], v[108:109]
	v_fma_f64 v[237:238], v[114:115], s[30:31], v[110:111]
	v_add_f64_e32 v[78:79], v[78:79], v[82:83]
	v_add_f64_e32 v[76:77], v[76:77], v[80:81]
	v_fma_f64 v[108:109], v[112:113], s[24:25], -v[108:109]
	v_fma_f64 v[217:218], v[114:115], s[26:27], v[161:162]
	v_fma_f64 v[161:162], v[114:115], s[12:13], v[161:162]
	;; [unrolled: 1-line block ×7, first 2 shown]
	v_mul_f64_e32 v[80:81], s[22:23], v[88:89]
	v_fma_f64 v[82:83], v[100:101], s[34:35], v[116:117]
	v_fma_f64 v[88:89], v[102:103], s[40:41], v[118:119]
	;; [unrolled: 1-line block ×3, first 2 shown]
	v_fma_f64 v[116:117], v[100:101], s[34:35], -v[116:117]
	v_fma_f64 v[118:119], v[102:103], s[10:11], v[118:119]
	v_fma_f64 v[114:115], v[104:105], s[16:17], v[96:97]
	v_fma_f64 v[96:97], v[104:105], s[16:17], -v[96:97]
	v_mul_f64_e32 v[18:19], s[26:27], v[46:47]
	v_mul_f64_e32 v[16:17], s[16:17], v[40:41]
	;; [unrolled: 1-line block ×4, first 2 shown]
	v_add_f64_e32 v[219:220], v[0:1], v[219:220]
	v_add_f64_e32 v[221:222], v[2:3], v[221:222]
	;; [unrolled: 1-line block ×18, first 2 shown]
	v_fma_f64 v[78:79], v[100:101], s[22:23], v[155:156]
	v_fma_f64 v[155:156], v[100:101], s[22:23], -v[155:156]
	v_add_f64_e32 v[0:1], v[0:1], v[108:109]
	v_fma_f64 v[108:109], v[102:103], s[12:13], v[195:196]
	v_add_f64_e32 v[217:218], v[2:3], v[217:218]
	v_add_f64_e32 v[161:162], v[2:3], v[161:162]
	;; [unrolled: 1-line block ×7, first 2 shown]
	v_fma_f64 v[110:111], v[104:105], s[20:21], v[197:198]
	v_fma_f64 v[76:77], v[106:107], s[12:13], v[98:99]
	;; [unrolled: 1-line block ×3, first 2 shown]
	v_mul_f64_e32 v[151:152], s[28:29], v[46:47]
	v_mul_f64_e32 v[153:154], s[18:19], v[40:41]
	v_mul_f64_e32 v[187:188], s[10:11], v[46:47]
	v_add_f64_e32 v[82:83], v[82:83], v[219:220]
	v_add_f64_e32 v[88:89], v[88:89], v[221:222]
	v_add_f64_e32 v[205:206], v[205:206], v[223:224]
	v_add_f64_e32 v[207:208], v[207:208], v[225:226]
	v_add_f64_e32 v[213:214], v[213:214], v[227:228]
	v_add_f64_e32 v[112:113], v[112:113], v[229:230]
	v_mul_f64_e32 v[219:220], s[28:29], v[90:91]
	v_add_f64_e32 v[233:234], v[239:240], v[233:234]
	v_mul_f64_e32 v[221:222], s[18:19], v[92:93]
	v_mul_f64_e32 v[90:91], s[10:11], v[90:91]
	v_mul_f64_e32 v[92:93], s[34:35], v[92:93]
	v_add_f64_e32 v[116:117], v[116:117], v[167:168]
	v_add_f64_e32 v[127:128], v[127:128], v[175:176]
	v_fma_f64 v[239:240], v[28:29], s[6:7], v[42:43]
	v_add_f64_e32 v[235:236], v[245:246], v[235:236]
	v_fma_f64 v[167:168], v[30:31], s[22:23], v[143:144]
	v_add_f64_e32 v[70:71], v[70:71], v[74:75]
	v_fma_f64 v[74:75], v[100:101], s[16:17], -v[189:190]
	v_fma_f64 v[189:190], v[102:103], s[26:27], v[195:196]
	v_add_f64_e32 v[68:69], v[68:69], v[72:73]
	v_fma_f64 v[72:73], v[106:107], s[38:39], v[199:200]
	v_fma_f64 v[195:196], v[104:105], s[20:21], -v[197:198]
	v_fma_f64 v[197:198], v[106:107], s[6:7], v[199:200]
	v_fma_f64 v[199:200], v[100:101], s[18:19], v[54:55]
	v_fma_f64 v[54:55], v[100:101], s[18:19], -v[54:55]
	v_fma_f64 v[100:101], v[100:101], s[20:21], -v[139:140]
	v_fma_f64 v[139:140], v[102:103], s[28:29], v[84:85]
	v_fma_f64 v[84:85], v[102:103], s[2:3], v[84:85]
	;; [unrolled: 1-line block ×3, first 2 shown]
	v_add_f64_e32 v[78:79], v[78:79], v[231:232]
	v_add_f64_e32 v[155:156], v[155:156], v[191:192]
	;; [unrolled: 1-line block ×4, first 2 shown]
	v_fma_f64 v[141:142], v[104:105], s[22:23], v[86:87]
	v_fma_f64 v[86:87], v[104:105], s[22:23], -v[86:87]
	v_fma_f64 v[104:105], v[106:107], s[36:37], v[80:81]
	v_fma_f64 v[80:81], v[106:107], s[0:1], v[80:81]
	v_add_f64_e32 v[118:119], v[118:119], v[169:170]
	v_add_f64_e32 v[129:130], v[129:130], v[177:178]
	v_fma_f64 v[231:232], v[30:31], s[20:21], v[44:45]
	v_add_f64_e32 v[82:83], v[201:202], v[82:83]
	v_add_f64_e32 v[88:89], v[203:204], v[88:89]
	;; [unrolled: 1-line block ×4, first 2 shown]
	v_fma_f64 v[169:170], v[28:29], s[36:37], v[145:146]
	v_add_f64_e32 v[114:115], v[114:115], v[213:214]
	v_add_f64_e32 v[76:77], v[76:77], v[112:113]
	v_fma_f64 v[201:202], v[30:31], s[24:25], v[171:172]
	v_fma_f64 v[203:204], v[28:29], s[14:15], v[173:174]
	v_add_f64_e32 v[233:234], v[243:244], v[233:234]
	v_mul_f64_e32 v[223:224], s[10:11], v[94:95]
	v_mul_f64_e32 v[225:226], s[34:35], v[52:53]
	v_fma_f64 v[171:172], v[30:31], s[24:25], -v[171:172]
	v_fma_f64 v[243:244], v[28:29], s[2:3], v[221:222]
	v_add_f64_e32 v[110:111], v[110:111], v[235:236]
	v_add_f64_e32 v[0:1], v[74:75], v[0:1]
	;; [unrolled: 1-line block ×3, first 2 shown]
	v_fma_f64 v[74:75], v[30:31], s[16:17], v[135:136]
	v_fma_f64 v[189:190], v[28:29], s[12:13], v[137:138]
	;; [unrolled: 1-line block ×4, first 2 shown]
	v_add_f64_e32 v[199:200], v[199:200], v[215:216]
	v_add_f64_e32 v[54:55], v[54:55], v[159:160]
	;; [unrolled: 1-line block ×7, first 2 shown]
	v_fma_f64 v[241:242], v[30:31], s[18:19], v[219:220]
	v_add_f64_e32 v[155:156], v[163:164], v[155:156]
	v_add_f64_e32 v[72:73], v[72:73], v[108:109]
	v_fma_f64 v[219:220], v[30:31], s[18:19], -v[219:220]
	v_add_f64_e32 v[157:158], v[165:166], v[157:158]
	v_mul_f64_e32 v[94:95], s[6:7], v[94:95]
	v_mul_f64_e32 v[52:53], s[20:21], v[52:53]
	v_fma_f64 v[108:109], v[30:31], s[34:35], v[90:91]
	v_fma_f64 v[90:91], v[30:31], s[34:35], -v[90:91]
	v_fma_f64 v[44:45], v[30:31], s[20:21], -v[44:45]
	;; [unrolled: 1-line block ×4, first 2 shown]
	v_fma_f64 v[143:144], v[28:29], s[10:11], v[92:93]
	v_fma_f64 v[42:43], v[28:29], s[38:39], v[42:43]
	;; [unrolled: 1-line block ×7, first 2 shown]
	v_add_f64_e32 v[82:83], v[231:232], v[82:83]
	v_add_f64_e32 v[88:89], v[239:240], v[88:89]
	v_fma_f64 v[215:216], v[26:27], s[18:19], v[50:51]
	v_fma_f64 v[217:218], v[24:25], s[28:29], v[48:49]
	;; [unrolled: 1-line block ×4, first 2 shown]
	v_add_f64_e32 v[0:1], v[195:196], v[0:1]
	v_add_f64_e32 v[2:3], v[197:198], v[2:3]
	;; [unrolled: 1-line block ×5, first 2 shown]
	v_mul_f64_e32 v[106:107], s[34:35], v[40:41]
	v_add_f64_e32 v[141:142], v[141:142], v[199:200]
	v_add_f64_e32 v[54:55], v[86:87], v[54:55]
	v_add_f64_e32 v[86:87], v[122:123], v[118:119]
	v_add_f64_e32 v[118:119], v[133:134], v[129:130]
	v_add_f64_e32 v[80:81], v[80:81], v[84:85]
	v_add_f64_e32 v[84:85], v[120:121], v[116:117]
	v_add_f64_e32 v[116:117], v[131:132], v[127:128]
	v_add_f64_e32 v[96:97], v[96:97], v[100:101]
	v_add_f64_e32 v[98:99], v[98:99], v[102:103]
	v_add_f64_e32 v[92:93], v[104:105], v[139:140]
	v_add_f64_e32 v[104:105], v[189:190], v[207:208]
	v_fma_f64 v[209:210], v[26:27], s[16:17], v[179:180]
	v_fma_f64 v[211:212], v[24:25], s[12:13], v[181:182]
	v_add_f64_e32 v[78:79], v[201:202], v[78:79]
	v_add_f64_e32 v[120:121], v[203:204], v[233:234]
	v_mul_f64_e32 v[227:228], s[36:37], v[46:47]
	v_mul_f64_e32 v[229:230], s[22:23], v[40:41]
	v_fma_f64 v[179:180], v[26:27], s[16:17], -v[179:180]
	v_fma_f64 v[163:164], v[26:27], s[34:35], v[223:224]
	v_fma_f64 v[165:166], v[24:25], s[40:41], v[225:226]
	v_add_f64_e32 v[122:123], v[171:172], v[155:156]
	v_add_f64_e32 v[110:111], v[241:242], v[110:111]
	;; [unrolled: 1-line block ×4, first 2 shown]
	v_fma_f64 v[100:101], v[26:27], s[34:35], -v[223:224]
	v_fma_f64 v[102:103], v[24:25], s[10:11], v[225:226]
	v_fma_f64 v[181:182], v[24:25], s[26:27], v[181:182]
	v_add_f64_e32 v[127:128], v[173:174], v[157:158]
	v_mul_f64_e32 v[46:47], s[14:15], v[46:47]
	v_add_f64_e32 v[14:15], v[70:71], v[14:15]
	v_fma_f64 v[70:71], v[26:27], s[20:21], v[94:95]
	v_fma_f64 v[72:73], v[26:27], s[20:21], -v[94:95]
	v_add_f64_e32 v[0:1], v[219:220], v[0:1]
	v_add_f64_e32 v[2:3], v[221:222], v[2:3]
	v_fma_f64 v[34:35], v[26:27], s[22:23], -v[34:35]
	v_fma_f64 v[50:51], v[26:27], s[18:19], -v[50:51]
	v_fma_f64 v[26:27], v[26:27], s[24:25], -v[147:148]
	v_fma_f64 v[94:95], v[24:25], s[6:7], v[52:53]
	v_fma_f64 v[32:33], v[24:25], s[36:37], v[32:33]
	;; [unrolled: 1-line block ×4, first 2 shown]
	v_add_f64_e32 v[54:55], v[90:91], v[54:55]
	v_add_f64_e32 v[80:81], v[143:144], v[80:81]
	;; [unrolled: 1-line block ×8, first 2 shown]
	v_mul_f64_e32 v[40:41], s[24:25], v[40:41]
	v_add_f64_e32 v[108:109], v[108:109], v[141:142]
	v_fma_f64 v[24:25], v[24:25], s[38:39], v[52:53]
	v_add_f64_e32 v[28:29], v[28:29], v[92:93]
	v_fma_f64 v[245:246], v[22:23], s[16:17], v[18:19]
	v_fma_f64 v[237:238], v[20:21], s[12:13], v[16:17]
	v_add_f64_e32 v[52:53], v[191:192], v[82:83]
	v_add_f64_e32 v[82:83], v[193:194], v[88:89]
	v_fma_f64 v[159:160], v[22:23], s[20:21], v[38:39]
	v_fma_f64 v[161:162], v[20:21], s[38:39], v[36:37]
	v_add_f64_e32 v[74:75], v[215:216], v[74:75]
	;; [unrolled: 4-line block ×4, first 2 shown]
	v_add_f64_e32 v[104:105], v[211:212], v[120:121]
	v_fma_f64 v[98:99], v[20:21], s[10:11], v[106:107]
	v_add_f64_e32 v[106:107], v[179:180], v[122:123]
	v_add_f64_e32 v[110:111], v[163:164], v[110:111]
	;; [unrolled: 1-line block ×3, first 2 shown]
	v_fma_f64 v[120:121], v[22:23], s[22:23], v[227:228]
	v_fma_f64 v[122:123], v[20:21], s[0:1], v[229:230]
	v_add_f64_e32 v[0:1], v[100:101], v[0:1]
	v_add_f64_e32 v[2:3], v[102:103], v[2:3]
	v_fma_f64 v[100:101], v[22:23], s[22:23], -v[227:228]
	v_fma_f64 v[102:103], v[20:21], s[36:37], v[229:230]
	v_fma_f64 v[96:97], v[22:23], s[34:35], -v[187:188]
	v_add_f64_e32 v[114:115], v[181:182], v[127:128]
	v_fma_f64 v[127:128], v[22:23], s[24:25], v[46:47]
	v_fma_f64 v[46:47], v[22:23], s[24:25], -v[46:47]
	v_fma_f64 v[131:132], v[22:23], s[16:17], -v[18:19]
	;; [unrolled: 1-line block ×3, first 2 shown]
	v_add_f64_e32 v[54:55], v[72:73], v[54:55]
	v_add_f64_e32 v[72:73], v[94:95], v[80:81]
	;; [unrolled: 1-line block ×8, first 2 shown]
	v_fma_f64 v[86:87], v[20:21], s[28:29], v[153:154]
	v_fma_f64 v[38:39], v[22:23], s[20:21], -v[38:39]
	v_fma_f64 v[90:91], v[20:21], s[6:7], v[36:37]
	v_fma_f64 v[94:95], v[20:21], s[26:27], v[16:17]
	v_add_f64_e32 v[70:71], v[70:71], v[108:109]
	v_fma_f64 v[108:109], v[20:21], s[14:15], v[40:41]
	v_add_f64_e32 v[116:117], v[12:13], v[4:5]
	v_add_f64_e32 v[118:119], v[14:15], v[6:7]
	v_fma_f64 v[129:130], v[20:21], s[30:31], v[40:41]
	v_add_f64_e32 v[135:136], v[24:25], v[28:29]
	v_add_f64_e32 v[4:5], v[245:246], v[52:53]
	;; [unrolled: 1-line block ×11, first 2 shown]
	v_mad_u32_u24 v52, 0xc0, v56, v57
	v_cmp_gt_u32_e64 s0, 13, v56
	v_add_f64_e32 v[32:33], v[100:101], v[0:1]
	v_add_f64_e32 v[34:35], v[102:103], v[2:3]
	;; [unrolled: 1-line block ×4, first 2 shown]
	v_lshlrev_b32_e32 v68, 4, v60
	v_add_f64_e32 v[0:1], v[46:47], v[54:55]
	v_add_f64_e32 v[36:37], v[131:132], v[44:45]
	v_lshl_add_u32 v131, v61, 4, v126
	v_add_f64_e32 v[44:45], v[133:134], v[50:51]
	v_add_f64_e32 v[46:47], v[86:87], v[84:85]
	;; [unrolled: 1-line block ×9, first 2 shown]
	v_lshl_add_u32 v128, v64, 4, v126
	v_add_f64_e32 v[50:51], v[129:130], v[135:136]
	v_lshl_add_u32 v130, v66, 4, v126
	v_lshl_add_u32 v129, v65, 4, v126
	ds_store_b128 v52, v[4:7] offset:32
	ds_store_b128 v52, v[12:15] offset:48
	;; [unrolled: 1-line block ×11, first 2 shown]
	ds_store_b128 v52, v[8:11]
	ds_store_b128 v52, v[48:51] offset:16
	global_wb scope:SCOPE_SE
	s_wait_dscnt 0x0
	s_barrier_signal -1
	s_barrier_wait -1
	global_inv scope:SCOPE_SE
	ds_load_b128 v[8:11], v125
	ds_load_b128 v[32:35], v57 offset:2704
	ds_load_b128 v[40:43], v57 offset:3120
	;; [unrolled: 1-line block ×3, first 2 shown]
	v_lshl_add_u32 v127, v63, 4, v126
	ds_load_b128 v[20:23], v130
	ds_load_b128 v[12:15], v129
	ds_load_b128 v[48:51], v57 offset:3952
	ds_load_b128 v[44:47], v57 offset:4368
	ds_load_b128 v[24:27], v128
	ds_load_b128 v[16:19], v127
	;; [unrolled: 1-line block ×3, first 2 shown]
	ds_load_b128 v[52:55], v57 offset:4784
                                        ; implicit-def: $vgpr6_vgpr7
	s_and_saveexec_b32 s1, s0
	s_cbranch_execz .LBB0_15
; %bb.14:
	v_add3_u32 v0, 0, v68, v67
	ds_load_b128 v[0:3], v0
	ds_load_b128 v[4:7], v57 offset:5200
.LBB0_15:
	s_wait_alu 0xfffe
	s_or_b32 exec_lo, exec_lo, s1
	v_add_nc_u32_e32 v58, -13, v56
	v_dual_mov_b32 v94, 0 :: v_dual_and_b32 v59, 0xff, v61
	v_and_b32_e32 v71, 0xff, v65
	v_and_b32_e32 v72, 0xff, v64
	s_delay_alu instid0(VALU_DEP_4)
	v_cndmask_b32_e64 v93, v58, v56, s0
	v_and_b32_e32 v58, 0xff, v66
	v_mul_lo_u16 v59, 0x4f, v59
	v_and_b32_e32 v73, 0xff, v63
	v_mul_lo_u16 v71, 0x4f, v71
	v_mul_lo_u16 v72, 0x4f, v72
	;; [unrolled: 1-line block ×3, first 2 shown]
	v_lshrrev_b16 v59, 10, v59
	v_mul_lo_u16 v73, 0x4f, v73
	v_lshrrev_b16 v106, 10, v71
	v_lshrrev_b16 v107, 10, v72
	;; [unrolled: 1-line block ×3, first 2 shown]
	v_mul_lo_u16 v74, v59, 13
	v_lshrrev_b16 v108, 10, v73
	v_lshlrev_b64_e32 v[69:70], 4, v[93:94]
	v_mul_lo_u16 v73, v106, 13
	v_mul_lo_u16 v71, v58, 13
	v_sub_nc_u16 v72, v61, v74
	v_mul_lo_u16 v74, v107, 13
	v_mul_lo_u16 v75, v108, 13
	v_sub_nc_u16 v73, v65, v73
	v_sub_nc_u16 v71, v66, v71
	v_and_b32_e32 v72, 0xff, v72
	v_add_co_u32 v69, s1, s4, v69
	v_sub_nc_u16 v74, v64, v74
	s_delay_alu instid0(VALU_DEP_4)
	v_and_b32_e32 v71, 0xff, v71
	s_wait_alu 0xf1ff
	v_add_co_ci_u32_e64 v70, s1, s5, v70, s1
	v_sub_nc_u16 v75, v63, v75
	v_lshlrev_b32_e32 v109, 4, v72
	v_and_b32_e32 v73, 0xff, v73
	v_lshlrev_b32_e32 v110, 4, v71
	v_and_b32_e32 v77, 0xff, v74
	v_and_b32_e32 v81, 0xff, v75
	global_load_b128 v[69:72], v[69:70], off
	v_lshlrev_b32_e32 v111, 4, v73
	global_load_b128 v[73:76], v109, s[4:5]
	v_lshlrev_b32_e32 v112, 4, v77
	global_load_b128 v[77:80], v110, s[4:5]
	v_lshlrev_b32_e32 v113, 4, v81
	s_clause 0x2
	global_load_b128 v[81:84], v111, s[4:5]
	global_load_b128 v[85:88], v112, s[4:5]
	;; [unrolled: 1-line block ×3, first 2 shown]
	v_cmp_lt_u32_e64 s1, 12, v56
	v_and_b32_e32 v59, 0xffff, v59
	v_and_b32_e32 v58, 0xffff, v58
	global_wb scope:SCOPE_SE
	s_wait_loadcnt_dscnt 0x0
	s_barrier_signal -1
	s_barrier_wait -1
	v_mad_u32_u24 v59, 0x1a0, v59, 0
	v_mad_u32_u24 v58, 0x1a0, v58, 0
	global_inv scope:SCOPE_SE
	v_add3_u32 v59, v59, v109, v67
	v_add3_u32 v58, v58, v110, v67
	v_mul_f64_e32 v[94:95], v[34:35], v[71:72]
	v_mul_f64_e32 v[71:72], v[32:33], v[71:72]
	;; [unrolled: 1-line block ×12, first 2 shown]
	v_fma_f64 v[32:33], v[32:33], v[69:70], v[94:95]
	v_fma_f64 v[34:35], v[34:35], v[69:70], -v[71:72]
	v_fma_f64 v[40:41], v[40:41], v[73:74], v[96:97]
	v_fma_f64 v[42:43], v[42:43], v[73:74], -v[75:76]
	;; [unrolled: 2-line block ×6, first 2 shown]
	v_add_f64_e64 v[32:33], v[8:9], -v[32:33]
	v_add_f64_e64 v[34:35], v[10:11], -v[34:35]
	;; [unrolled: 1-line block ×12, first 2 shown]
	s_wait_alu 0xf1ff
	v_cndmask_b32_e64 v69, 0, 0x1a0, s1
	v_lshlrev_b32_e32 v70, 4, v93
	v_and_b32_e32 v71, 0xffff, v107
	v_and_b32_e32 v72, 0xffff, v108
	s_delay_alu instid0(VALU_DEP_4) | instskip(NEXT) | instid1(VALU_DEP_3)
	v_add_nc_u32_e32 v69, 0, v69
	v_mad_u32_u24 v71, 0x1a0, v71, 0
	s_delay_alu instid0(VALU_DEP_3) | instskip(NEXT) | instid1(VALU_DEP_3)
	v_mad_u32_u24 v72, 0x1a0, v72, 0
	v_add3_u32 v69, v69, v70, v67
	v_and_b32_e32 v70, 0xffff, v106
	s_delay_alu instid0(VALU_DEP_4) | instskip(NEXT) | instid1(VALU_DEP_4)
	v_add3_u32 v71, v71, v112, v67
	v_add3_u32 v72, v72, v113, v67
	s_delay_alu instid0(VALU_DEP_3) | instskip(NEXT) | instid1(VALU_DEP_1)
	v_mad_u32_u24 v70, 0x1a0, v70, 0
	v_add3_u32 v70, v70, v111, v67
	v_fma_f64 v[8:9], v[8:9], 2.0, -v[32:33]
	v_fma_f64 v[10:11], v[10:11], 2.0, -v[34:35]
	;; [unrolled: 1-line block ×12, first 2 shown]
	ds_store_b128 v69, v[8:11]
	ds_store_b128 v69, v[32:35] offset:208
	ds_store_b128 v59, v[28:31]
	ds_store_b128 v59, v[36:39] offset:208
	;; [unrolled: 2-line block ×6, first 2 shown]
	s_and_saveexec_b32 s1, s0
	s_cbranch_execz .LBB0_17
; %bb.16:
	v_and_b32_e32 v8, 0xff, v60
	s_delay_alu instid0(VALU_DEP_1) | instskip(NEXT) | instid1(VALU_DEP_1)
	v_mul_lo_u16 v8, 0x4f, v8
	v_lshrrev_b16 v8, 10, v8
	s_delay_alu instid0(VALU_DEP_1) | instskip(NEXT) | instid1(VALU_DEP_1)
	v_mul_lo_u16 v8, v8, 13
	v_sub_nc_u16 v8, v60, v8
	s_delay_alu instid0(VALU_DEP_1) | instskip(NEXT) | instid1(VALU_DEP_1)
	v_and_b32_e32 v8, 0xff, v8
	v_lshlrev_b32_e32 v14, 4, v8
	global_load_b128 v[8:11], v14, s[4:5]
	s_wait_loadcnt 0x0
	v_mul_f64_e32 v[12:13], v[4:5], v[10:11]
	v_mul_f64_e32 v[10:11], v[6:7], v[10:11]
	s_delay_alu instid0(VALU_DEP_2) | instskip(NEXT) | instid1(VALU_DEP_2)
	v_fma_f64 v[6:7], v[6:7], v[8:9], -v[12:13]
	v_fma_f64 v[4:5], v[4:5], v[8:9], v[10:11]
	v_add3_u32 v8, 0, v14, v67
	s_delay_alu instid0(VALU_DEP_3) | instskip(NEXT) | instid1(VALU_DEP_3)
	v_add_f64_e64 v[6:7], v[2:3], -v[6:7]
	v_add_f64_e64 v[4:5], v[0:1], -v[4:5]
	s_delay_alu instid0(VALU_DEP_2) | instskip(NEXT) | instid1(VALU_DEP_2)
	v_fma_f64 v[2:3], v[2:3], 2.0, -v[6:7]
	v_fma_f64 v[0:1], v[0:1], 2.0, -v[4:5]
	ds_store_b128 v8, v[0:3] offset:4992
	ds_store_b128 v8, v[4:7] offset:5200
.LBB0_17:
	s_wait_alu 0xfffe
	s_or_b32 exec_lo, exec_lo, s1
	v_mul_u32_u24_e32 v0, 12, v56
	global_wb scope:SCOPE_SE
	s_wait_dscnt 0x0
	s_barrier_signal -1
	s_barrier_wait -1
	global_inv scope:SCOPE_SE
	v_lshlrev_b32_e32 v32, 4, v0
	s_mov_b32 s42, 0x4267c47c
	s_mov_b32 s26, 0x42a4c3d2
	;; [unrolled: 1-line block ×4, first 2 shown]
	s_clause 0x2
	global_load_b128 v[0:3], v32, s[4:5] offset:208
	global_load_b128 v[6:9], v32, s[4:5] offset:224
	;; [unrolled: 1-line block ×3, first 2 shown]
	ds_load_b128 v[14:17], v131
	ds_load_b128 v[18:21], v57 offset:4992
	s_mov_b32 s34, 0x24c2f84
	s_mov_b32 s22, 0x4bc48dbf
	;; [unrolled: 1-line block ×25, first 2 shown]
	s_wait_alu 0xfffe
	s_mov_b32 s36, s26
	s_mov_b32 s30, s40
	;; [unrolled: 1-line block ×5, first 2 shown]
	s_wait_loadcnt_dscnt 0x201
	v_mul_f64_e32 v[22:23], v[16:17], v[2:3]
	v_mul_f64_e32 v[24:25], v[14:15], v[2:3]
	ds_load_b128 v[2:5], v130
	v_fma_f64 v[54:55], v[14:15], v[0:1], v[22:23]
	v_fma_f64 v[71:72], v[16:17], v[0:1], -v[24:25]
	ds_load_b128 v[14:17], v129
	s_wait_loadcnt_dscnt 0x101
	v_mul_f64_e32 v[0:1], v[2:3], v[8:9]
	v_mul_f64_e32 v[8:9], v[4:5], v[8:9]
	global_load_b128 v[22:25], v32, s[4:5] offset:368
	v_fma_f64 v[4:5], v[4:5], v[6:7], -v[0:1]
	v_fma_f64 v[6:7], v[2:3], v[6:7], v[8:9]
	s_wait_loadcnt 0x1
	v_mul_f64_e32 v[0:1], v[18:19], v[12:13]
	v_mul_f64_e32 v[2:3], v[20:21], v[12:13]
	s_delay_alu instid0(VALU_DEP_2) | instskip(NEXT) | instid1(VALU_DEP_2)
	v_fma_f64 v[0:1], v[20:21], v[10:11], -v[0:1]
	v_fma_f64 v[2:3], v[18:19], v[10:11], v[2:3]
	s_clause 0x1
	global_load_b128 v[8:11], v32, s[4:5] offset:240
	global_load_b128 v[26:29], v32, s[4:5] offset:256
	v_add_f64_e32 v[75:76], v[54:55], v[2:3]
	s_wait_loadcnt_dscnt 0x100
	v_mul_f64_e32 v[12:13], v[14:15], v[10:11]
	v_mul_f64_e32 v[10:11], v[16:17], v[10:11]
	s_delay_alu instid0(VALU_DEP_2)
	v_fma_f64 v[12:13], v[16:17], v[8:9], -v[12:13]
	ds_load_b128 v[16:19], v57 offset:4576
	ds_load_b128 v[33:36], v57 offset:4160
	v_fma_f64 v[14:15], v[14:15], v[8:9], v[10:11]
	s_wait_dscnt 0x1
	v_mul_f64_e32 v[8:9], v[16:17], v[24:25]
	v_mul_f64_e32 v[10:11], v[18:19], v[24:25]
	s_delay_alu instid0(VALU_DEP_2)
	v_fma_f64 v[8:9], v[18:19], v[22:23], -v[8:9]
	s_clause 0x1
	global_load_b128 v[18:21], v32, s[4:5] offset:352
	global_load_b128 v[42:45], v32, s[4:5] offset:336
	v_fma_f64 v[10:11], v[16:17], v[22:23], v[10:11]
	s_wait_loadcnt_dscnt 0x100
	v_mul_f64_e32 v[16:17], v[33:34], v[20:21]
	v_mul_f64_e32 v[20:21], v[35:36], v[20:21]
	s_delay_alu instid0(VALU_DEP_2) | instskip(NEXT) | instid1(VALU_DEP_2)
	v_fma_f64 v[16:17], v[35:36], v[18:19], -v[16:17]
	v_fma_f64 v[18:19], v[33:34], v[18:19], v[20:21]
	ds_load_b128 v[22:25], v128
	ds_load_b128 v[33:36], v127
	s_wait_dscnt 0x1
	v_mul_f64_e32 v[20:21], v[24:25], v[28:29]
	s_delay_alu instid0(VALU_DEP_1) | instskip(SKIP_1) | instid1(VALU_DEP_1)
	v_fma_f64 v[20:21], v[22:23], v[26:27], v[20:21]
	v_mul_f64_e32 v[22:23], v[22:23], v[28:29]
	v_fma_f64 v[22:23], v[24:25], v[26:27], -v[22:23]
	s_clause 0x1
	global_load_b128 v[26:29], v32, s[4:5] offset:272
	global_load_b128 v[37:40], v32, s[4:5] offset:288
	s_wait_loadcnt_dscnt 0x100
	v_mul_f64_e32 v[24:25], v[35:36], v[28:29]
	v_mul_f64_e32 v[28:29], v[33:34], v[28:29]
	s_delay_alu instid0(VALU_DEP_2) | instskip(NEXT) | instid1(VALU_DEP_2)
	v_fma_f64 v[24:25], v[33:34], v[26:27], v[24:25]
	v_fma_f64 v[26:27], v[35:36], v[26:27], -v[28:29]
	v_add3_u32 v28, 0, v68, v67
	ds_load_b128 v[33:36], v28
	s_wait_loadcnt_dscnt 0x0
	v_mul_f64_e32 v[28:29], v[35:36], v[39:40]
	v_mul_f64_e32 v[30:31], v[33:34], v[39:40]
	s_delay_alu instid0(VALU_DEP_2) | instskip(NEXT) | instid1(VALU_DEP_2)
	v_fma_f64 v[28:29], v[33:34], v[37:38], v[28:29]
	v_fma_f64 v[30:31], v[35:36], v[37:38], -v[30:31]
	s_clause 0x1
	global_load_b128 v[34:37], v32, s[4:5] offset:304
	global_load_b128 v[38:41], v32, s[4:5] offset:320
	ds_load_b128 v[46:49], v57 offset:2912
	ds_load_b128 v[67:70], v125
	s_wait_loadcnt_dscnt 0x101
	v_mul_f64_e32 v[32:33], v[48:49], v[36:37]
	v_mul_f64_e32 v[36:37], v[46:47], v[36:37]
	s_delay_alu instid0(VALU_DEP_2) | instskip(NEXT) | instid1(VALU_DEP_2)
	v_fma_f64 v[32:33], v[46:47], v[34:35], v[32:33]
	v_fma_f64 v[34:35], v[48:49], v[34:35], -v[36:37]
	ds_load_b128 v[46:49], v57 offset:3328
	ds_load_b128 v[50:53], v57 offset:3744
	global_wb scope:SCOPE_SE
	s_wait_loadcnt_dscnt 0x0
	s_barrier_signal -1
	s_barrier_wait -1
	global_inv scope:SCOPE_SE
	v_mul_f64_e32 v[36:37], v[48:49], v[40:41]
	v_mul_f64_e32 v[40:41], v[46:47], v[40:41]
	v_add_f64_e32 v[164:165], v[28:29], v[32:33]
	v_add_f64_e64 v[170:171], v[28:29], -v[32:33]
	s_delay_alu instid0(VALU_DEP_4) | instskip(NEXT) | instid1(VALU_DEP_4)
	v_fma_f64 v[36:37], v[46:47], v[38:39], v[36:37]
	v_fma_f64 v[38:39], v[48:49], v[38:39], -v[40:41]
	v_mul_f64_e32 v[40:41], v[52:53], v[44:45]
	v_mul_f64_e32 v[44:45], v[50:51], v[44:45]
	s_delay_alu instid0(VALU_DEP_4) | instskip(SKIP_1) | instid1(VALU_DEP_4)
	v_add_f64_e32 v[152:153], v[24:25], v[36:37]
	v_add_f64_e64 v[158:159], v[24:25], -v[36:37]
	v_fma_f64 v[40:41], v[50:51], v[42:43], v[40:41]
	s_delay_alu instid0(VALU_DEP_4) | instskip(SKIP_1) | instid1(VALU_DEP_3)
	v_fma_f64 v[42:43], v[52:53], v[42:43], -v[44:45]
	v_add_f64_e64 v[44:45], v[71:72], -v[0:1]
	v_add_f64_e64 v[146:147], v[20:21], -v[40:41]
	s_delay_alu instid0(VALU_DEP_3) | instskip(NEXT) | instid1(VALU_DEP_3)
	v_add_f64_e64 v[142:143], v[22:23], -v[42:43]
	v_mul_f64_e32 v[46:47], s[42:43], v[44:45]
	v_mul_f64_e32 v[48:49], s[26:27], v[44:45]
	;; [unrolled: 1-line block ×6, first 2 shown]
	v_fma_f64 v[77:78], v[75:76], s[16:17], v[46:47]
	v_fma_f64 v[79:80], v[75:76], s[16:17], -v[46:47]
	v_fma_f64 v[81:82], v[75:76], s[12:13], v[48:49]
	v_fma_f64 v[83:84], v[75:76], s[12:13], -v[48:49]
	v_fma_f64 v[85:86], v[75:76], s[14:15], v[50:51]
	v_fma_f64 v[97:98], v[75:76], s[2:3], v[44:45]
	v_fma_f64 v[99:100], v[75:76], s[2:3], -v[44:45]
	v_add_f64_e32 v[44:45], v[71:72], v[0:1]
	v_fma_f64 v[87:88], v[75:76], s[14:15], -v[50:51]
	v_fma_f64 v[89:90], v[75:76], s[10:11], v[52:53]
	v_fma_f64 v[91:92], v[75:76], s[10:11], -v[52:53]
	v_fma_f64 v[93:94], v[75:76], s[6:7], v[73:74]
	v_fma_f64 v[95:96], v[75:76], s[6:7], -v[73:74]
	v_add_f64_e64 v[75:76], v[54:55], -v[2:3]
	v_add_f64_e32 v[138:139], v[67:68], v[79:80]
	v_add_f64_e32 v[123:124], v[67:68], v[81:82]
	;; [unrolled: 1-line block ×4, first 2 shown]
	v_mul_f64_e32 v[46:47], s[16:17], v[44:45]
	v_mul_f64_e32 v[48:49], s[12:13], v[44:45]
	;; [unrolled: 1-line block ×6, first 2 shown]
	v_add_f64_e64 v[99:100], v[4:5], -v[8:9]
	v_add_f64_e32 v[81:82], v[67:68], v[95:96]
	v_add_f64_e32 v[95:96], v[67:68], v[97:98]
	v_fma_f64 v[101:102], v[75:76], s[38:39], v[46:47]
	v_fma_f64 v[103:104], v[75:76], s[42:43], v[46:47]
	s_wait_alu 0xfffe
	v_fma_f64 v[105:106], v[75:76], s[36:37], v[48:49]
	v_fma_f64 v[107:108], v[75:76], s[26:27], v[48:49]
	;; [unrolled: 1-line block ×10, first 2 shown]
	v_add_f64_e32 v[44:45], v[67:68], v[54:55]
	v_add_f64_e32 v[46:47], v[69:70], v[71:72]
	;; [unrolled: 1-line block ×21, first 2 shown]
	v_mul_f64_e32 v[69:70], s[26:27], v[99:100]
	v_add_f64_e32 v[136:137], v[4:5], v[8:9]
	v_add_f64_e32 v[4:5], v[46:47], v[4:5]
	s_delay_alu instid0(VALU_DEP_3) | instskip(NEXT) | instid1(VALU_DEP_3)
	v_fma_f64 v[87:88], v[67:68], s[12:13], -v[69:70]
	v_mul_f64_e32 v[89:90], s[12:13], v[136:137]
	s_delay_alu instid0(VALU_DEP_3) | instskip(NEXT) | instid1(VALU_DEP_3)
	v_add_f64_e32 v[4:5], v[4:5], v[12:13]
	v_add_f64_e32 v[113:114], v[87:88], v[138:139]
	v_add_f64_e64 v[87:88], v[6:7], -v[10:11]
	v_add_f64_e64 v[138:139], v[12:13], -v[16:17]
	v_add_f64_e32 v[6:7], v[44:45], v[6:7]
	v_add_f64_e32 v[4:5], v[4:5], v[22:23]
	s_delay_alu instid0(VALU_DEP_4) | instskip(NEXT) | instid1(VALU_DEP_4)
	v_fma_f64 v[93:94], v[87:88], s[26:27], v[89:90]
	v_mul_f64_e32 v[97:98], s[40:41], v[138:139]
	v_mul_f64_e32 v[58:59], s[34:35], v[138:139]
	v_add_f64_e32 v[6:7], v[6:7], v[14:15]
	v_add_f64_e32 v[4:5], v[4:5], v[26:27]
	v_add_f64_e32 v[117:118], v[93:94], v[140:141]
	v_add_f64_e32 v[93:94], v[14:15], v[18:19]
	v_add_f64_e32 v[140:141], v[12:13], v[16:17]
	v_add_f64_e32 v[6:7], v[6:7], v[20:21]
	v_add_f64_e32 v[4:5], v[4:5], v[30:31]
	s_delay_alu instid0(VALU_DEP_4) | instskip(NEXT) | instid1(VALU_DEP_3)
	v_fma_f64 v[115:116], v[93:94], s[14:15], -v[97:98]
	v_add_f64_e32 v[6:7], v[6:7], v[24:25]
	s_delay_alu instid0(VALU_DEP_3) | instskip(NEXT) | instid1(VALU_DEP_3)
	v_add_f64_e32 v[4:5], v[4:5], v[34:35]
	v_add_f64_e32 v[132:133], v[115:116], v[113:114]
	v_add_f64_e64 v[113:114], v[14:15], -v[18:19]
	v_mul_f64_e32 v[115:116], s[14:15], v[140:141]
	v_add_f64_e32 v[6:7], v[6:7], v[28:29]
	v_add_f64_e32 v[4:5], v[4:5], v[38:39]
	s_delay_alu instid0(VALU_DEP_3) | instskip(NEXT) | instid1(VALU_DEP_3)
	v_fma_f64 v[119:120], v[113:114], s[40:41], v[115:116]
	v_add_f64_e32 v[6:7], v[6:7], v[32:33]
	s_delay_alu instid0(VALU_DEP_3) | instskip(NEXT) | instid1(VALU_DEP_3)
	v_add_f64_e32 v[4:5], v[4:5], v[42:43]
	v_add_f64_e32 v[134:135], v[119:120], v[117:118]
	;; [unrolled: 1-line block ×3, first 2 shown]
	v_mul_f64_e32 v[119:120], s[20:21], v[142:143]
	v_add_f64_e32 v[6:7], v[6:7], v[36:37]
	v_add_f64_e32 v[4:5], v[4:5], v[16:17]
	s_delay_alu instid0(VALU_DEP_3) | instskip(NEXT) | instid1(VALU_DEP_3)
	v_fma_f64 v[144:145], v[117:118], s[10:11], -v[119:120]
	v_add_f64_e32 v[6:7], v[6:7], v[40:41]
	s_delay_alu instid0(VALU_DEP_3) | instskip(NEXT) | instid1(VALU_DEP_3)
	v_add_f64_e32 v[4:5], v[4:5], v[8:9]
                                        ; implicit-def: $vgpr8_vgpr9
	v_add_f64_e32 v[132:133], v[144:145], v[132:133]
	v_add_f64_e32 v[144:145], v[22:23], v[42:43]
	s_delay_alu instid0(VALU_DEP_4) | instskip(NEXT) | instid1(VALU_DEP_4)
	v_add_f64_e32 v[6:7], v[6:7], v[18:19]
	v_add_f64_e32 v[4:5], v[4:5], v[0:1]
	s_delay_alu instid0(VALU_DEP_3) | instskip(NEXT) | instid1(VALU_DEP_3)
	v_mul_f64_e32 v[148:149], s[10:11], v[144:145]
	v_add_f64_e32 v[6:7], v[6:7], v[10:11]
	v_sub_nc_u32_e32 v10, v126, v62
	s_delay_alu instid0(VALU_DEP_3) | instskip(NEXT) | instid1(VALU_DEP_3)
	v_fma_f64 v[150:151], v[146:147], s[20:21], v[148:149]
	v_add_f64_e32 v[2:3], v[6:7], v[2:3]
	s_delay_alu instid0(VALU_DEP_2) | instskip(SKIP_1) | instid1(VALU_DEP_1)
	v_add_f64_e32 v[134:135], v[150:151], v[134:135]
	v_add_f64_e64 v[150:151], v[26:27], -v[38:39]
	v_mul_f64_e32 v[154:155], s[34:35], v[150:151]
	s_delay_alu instid0(VALU_DEP_1) | instskip(NEXT) | instid1(VALU_DEP_1)
	v_fma_f64 v[156:157], v[152:153], s[6:7], -v[154:155]
	v_add_f64_e32 v[132:133], v[156:157], v[132:133]
	v_add_f64_e32 v[156:157], v[26:27], v[38:39]
	s_delay_alu instid0(VALU_DEP_1) | instskip(NEXT) | instid1(VALU_DEP_1)
	v_mul_f64_e32 v[160:161], s[6:7], v[156:157]
	v_fma_f64 v[162:163], v[158:159], s[34:35], v[160:161]
	s_delay_alu instid0(VALU_DEP_1) | instskip(SKIP_1) | instid1(VALU_DEP_1)
	v_add_f64_e32 v[134:135], v[162:163], v[134:135]
	v_add_f64_e64 v[162:163], v[30:31], -v[34:35]
	v_mul_f64_e32 v[166:167], s[22:23], v[162:163]
	v_mul_f64_e32 v[192:193], s[38:39], v[162:163]
	;; [unrolled: 1-line block ×6, first 2 shown]
	v_fma_f64 v[168:169], v[164:165], s[2:3], -v[166:167]
	s_delay_alu instid0(VALU_DEP_1) | instskip(SKIP_1) | instid1(VALU_DEP_1)
	v_add_f64_e32 v[132:133], v[168:169], v[132:133]
	v_add_f64_e32 v[168:169], v[30:31], v[34:35]
	v_mul_f64_e32 v[172:173], s[2:3], v[168:169]
	v_mul_f64_e32 v[194:195], s[16:17], v[168:169]
	;; [unrolled: 1-line block ×6, first 2 shown]
	v_fma_f64 v[174:175], v[170:171], s[22:23], v[172:173]
	s_delay_alu instid0(VALU_DEP_1) | instskip(SKIP_1) | instid1(VALU_DEP_1)
	v_add_f64_e32 v[134:135], v[174:175], v[134:135]
	v_mul_f64_e32 v[174:175], s[20:21], v[99:100]
	v_fma_f64 v[176:177], v[67:68], s[10:11], v[174:175]
	s_delay_alu instid0(VALU_DEP_1) | instskip(SKIP_1) | instid1(VALU_DEP_1)
	v_add_f64_e32 v[123:124], v[176:177], v[123:124]
	v_mul_f64_e32 v[176:177], s[10:11], v[136:137]
	v_fma_f64 v[178:179], v[87:88], s[28:29], v[176:177]
	s_delay_alu instid0(VALU_DEP_1) | instskip(SKIP_1) | instid1(VALU_DEP_1)
	v_add_f64_e32 v[121:122], v[178:179], v[121:122]
	v_mul_f64_e32 v[178:179], s[22:23], v[138:139]
	v_fma_f64 v[180:181], v[93:94], s[2:3], v[178:179]
	s_delay_alu instid0(VALU_DEP_1) | instskip(SKIP_1) | instid1(VALU_DEP_1)
	v_add_f64_e32 v[123:124], v[180:181], v[123:124]
	v_mul_f64_e32 v[180:181], s[2:3], v[140:141]
	v_fma_f64 v[182:183], v[113:114], s[18:19], v[180:181]
	s_delay_alu instid0(VALU_DEP_1) | instskip(SKIP_1) | instid1(VALU_DEP_1)
	v_add_f64_e32 v[121:122], v[182:183], v[121:122]
	v_mul_f64_e32 v[182:183], s[24:25], v[142:143]
	v_fma_f64 v[184:185], v[117:118], s[6:7], v[182:183]
	s_delay_alu instid0(VALU_DEP_1) | instskip(SKIP_1) | instid1(VALU_DEP_1)
	v_add_f64_e32 v[123:124], v[184:185], v[123:124]
	v_mul_f64_e32 v[184:185], s[6:7], v[144:145]
	v_fma_f64 v[186:187], v[146:147], s[34:35], v[184:185]
	s_delay_alu instid0(VALU_DEP_1) | instskip(SKIP_1) | instid1(VALU_DEP_1)
	v_add_f64_e32 v[121:122], v[186:187], v[121:122]
	v_mul_f64_e32 v[186:187], s[30:31], v[150:151]
	v_fma_f64 v[188:189], v[152:153], s[14:15], v[186:187]
	s_delay_alu instid0(VALU_DEP_1) | instskip(SKIP_1) | instid1(VALU_DEP_1)
	v_add_f64_e32 v[123:124], v[188:189], v[123:124]
	v_mul_f64_e32 v[188:189], s[14:15], v[156:157]
	v_fma_f64 v[190:191], v[158:159], s[40:41], v[188:189]
	s_delay_alu instid0(VALU_DEP_1) | instskip(SKIP_1) | instid1(VALU_DEP_1)
	v_add_f64_e32 v[190:191], v[190:191], v[121:122]
	v_fma_f64 v[121:122], v[164:165], s[16:17], v[192:193]
	v_add_f64_e32 v[121:122], v[121:122], v[123:124]
	v_fma_f64 v[123:124], v[170:171], s[42:43], v[194:195]
	s_delay_alu instid0(VALU_DEP_1) | instskip(SKIP_1) | instid1(VALU_DEP_1)
	v_add_f64_e32 v[123:124], v[123:124], v[190:191]
	v_mul_f64_e32 v[190:191], s[22:23], v[99:100]
	v_fma_f64 v[196:197], v[67:68], s[2:3], v[190:191]
	s_delay_alu instid0(VALU_DEP_1) | instskip(SKIP_1) | instid1(VALU_DEP_1)
	v_add_f64_e32 v[111:112], v[196:197], v[111:112]
	v_mul_f64_e32 v[196:197], s[2:3], v[136:137]
	v_fma_f64 v[198:199], v[87:88], s[18:19], v[196:197]
	s_delay_alu instid0(VALU_DEP_1) | instskip(SKIP_1) | instid1(VALU_DEP_1)
	v_add_f64_e32 v[109:110], v[198:199], v[109:110]
	v_mul_f64_e32 v[198:199], s[28:29], v[138:139]
	v_fma_f64 v[200:201], v[93:94], s[10:11], v[198:199]
	s_delay_alu instid0(VALU_DEP_1) | instskip(SKIP_1) | instid1(VALU_DEP_1)
	v_add_f64_e32 v[111:112], v[200:201], v[111:112]
	v_mul_f64_e32 v[200:201], s[10:11], v[140:141]
	v_fma_f64 v[202:203], v[113:114], s[20:21], v[200:201]
	s_delay_alu instid0(VALU_DEP_1) | instskip(SKIP_1) | instid1(VALU_DEP_1)
	v_add_f64_e32 v[109:110], v[202:203], v[109:110]
	v_mul_f64_e32 v[202:203], s[38:39], v[142:143]
	v_fma_f64 v[204:205], v[117:118], s[16:17], v[202:203]
	s_delay_alu instid0(VALU_DEP_1) | instskip(SKIP_1) | instid1(VALU_DEP_1)
	v_add_f64_e32 v[111:112], v[204:205], v[111:112]
	v_mul_f64_e32 v[204:205], s[16:17], v[144:145]
	v_fma_f64 v[206:207], v[146:147], s[42:43], v[204:205]
	s_delay_alu instid0(VALU_DEP_1) | instskip(SKIP_1) | instid1(VALU_DEP_1)
	v_add_f64_e32 v[109:110], v[206:207], v[109:110]
	v_mul_f64_e32 v[206:207], s[26:27], v[150:151]
	v_fma_f64 v[208:209], v[152:153], s[12:13], v[206:207]
	s_delay_alu instid0(VALU_DEP_1) | instskip(SKIP_1) | instid1(VALU_DEP_1)
	v_add_f64_e32 v[111:112], v[208:209], v[111:112]
	v_mul_f64_e32 v[208:209], s[12:13], v[156:157]
	v_fma_f64 v[210:211], v[158:159], s[36:37], v[208:209]
	s_delay_alu instid0(VALU_DEP_1) | instskip(SKIP_1) | instid1(VALU_DEP_1)
	v_add_f64_e32 v[210:211], v[210:211], v[109:110]
	v_fma_f64 v[109:110], v[164:165], s[6:7], v[212:213]
	v_add_f64_e32 v[109:110], v[109:110], v[111:112]
	;; [unrolled: 37-line block ×3, first 2 shown]
	v_fma_f64 v[107:108], v[170:171], s[26:27], v[234:235]
	s_delay_alu instid0(VALU_DEP_1) | instskip(SKIP_2) | instid1(VALU_DEP_2)
	v_add_f64_e32 v[107:108], v[107:108], v[230:231]
	v_mul_f64_e32 v[230:231], s[30:31], v[99:100]
	v_mul_f64_e32 v[99:100], s[38:39], v[99:100]
	v_fma_f64 v[236:237], v[67:68], s[14:15], v[230:231]
	s_delay_alu instid0(VALU_DEP_1) | instskip(SKIP_1) | instid1(VALU_DEP_1)
	v_add_f64_e32 v[103:104], v[236:237], v[103:104]
	v_mul_f64_e32 v[236:237], s[14:15], v[136:137]
	v_fma_f64 v[238:239], v[87:88], s[40:41], v[236:237]
	s_delay_alu instid0(VALU_DEP_1) | instskip(SKIP_1) | instid1(VALU_DEP_1)
	v_add_f64_e32 v[101:102], v[238:239], v[101:102]
	v_mul_f64_e32 v[238:239], s[26:27], v[138:139]
	v_fma_f64 v[240:241], v[93:94], s[12:13], v[238:239]
	s_delay_alu instid0(VALU_DEP_1) | instskip(SKIP_2) | instid1(VALU_DEP_2)
	v_add_f64_e32 v[103:104], v[240:241], v[103:104]
	v_mul_f64_e32 v[240:241], s[12:13], v[140:141]
	v_mul_f64_e32 v[140:141], s[6:7], v[140:141]
	v_fma_f64 v[242:243], v[113:114], s[36:37], v[240:241]
	s_delay_alu instid0(VALU_DEP_1) | instskip(SKIP_2) | instid1(VALU_DEP_2)
	v_add_f64_e32 v[101:102], v[242:243], v[101:102]
	v_mul_f64_e32 v[242:243], s[18:19], v[142:143]
	;; [unrolled: 5-line block ×5, first 2 shown]
	v_mul_f64_e32 v[156:157], s[10:11], v[156:157]
	v_fma_f64 v[250:251], v[158:159], s[42:43], v[248:249]
	s_delay_alu instid0(VALU_DEP_1) | instskip(SKIP_1) | instid1(VALU_DEP_1)
	v_add_f64_e32 v[250:251], v[250:251], v[101:102]
	v_fma_f64 v[101:102], v[164:165], s[10:11], v[252:253]
	v_add_f64_e32 v[101:102], v[101:102], v[103:104]
	v_fma_f64 v[103:104], v[170:171], s[28:29], v[254:255]
	s_delay_alu instid0(VALU_DEP_1) | instskip(SKIP_1) | instid1(VALU_DEP_1)
	v_add_f64_e32 v[103:104], v[103:104], v[250:251]
	v_fma_f64 v[250:251], v[67:68], s[16:17], v[99:100]
	v_add_f64_e32 v[95:96], v[250:251], v[95:96]
	v_mul_f64_e32 v[250:251], s[16:17], v[136:137]
	s_delay_alu instid0(VALU_DEP_1) | instskip(NEXT) | instid1(VALU_DEP_1)
	v_fma_f64 v[136:137], v[87:88], s[42:43], v[250:251]
	v_add_f64_e32 v[91:92], v[136:137], v[91:92]
	v_fma_f64 v[136:137], v[93:94], s[6:7], v[58:59]
	v_fma_f64 v[58:59], v[93:94], s[6:7], -v[58:59]
	s_delay_alu instid0(VALU_DEP_2) | instskip(SKIP_1) | instid1(VALU_DEP_1)
	v_add_f64_e32 v[95:96], v[136:137], v[95:96]
	v_fma_f64 v[136:137], v[113:114], s[24:25], v[140:141]
	v_add_f64_e32 v[91:92], v[136:137], v[91:92]
	v_fma_f64 v[136:137], v[117:118], s[12:13], v[142:143]
	s_delay_alu instid0(VALU_DEP_1) | instskip(SKIP_1) | instid1(VALU_DEP_1)
	v_add_f64_e32 v[95:96], v[136:137], v[95:96]
	v_fma_f64 v[136:137], v[146:147], s[26:27], v[144:145]
	v_add_f64_e32 v[91:92], v[136:137], v[91:92]
	v_fma_f64 v[136:137], v[152:153], s[10:11], v[150:151]
	s_delay_alu instid0(VALU_DEP_1) | instskip(SKIP_1) | instid1(VALU_DEP_1)
	;; [unrolled: 5-line block ×3, first 2 shown]
	v_add_f64_e32 v[136:137], v[136:137], v[95:96]
	v_fma_f64 v[95:96], v[170:171], s[40:41], v[168:169]
	v_add_f64_e32 v[138:139], v[95:96], v[91:92]
	v_fma_f64 v[91:92], v[67:68], s[16:17], -v[99:100]
	s_delay_alu instid0(VALU_DEP_1) | instskip(SKIP_1) | instid1(VALU_DEP_2)
	v_add_f64_e32 v[85:86], v[91:92], v[85:86]
	v_fma_f64 v[91:92], v[87:88], s[38:39], v[250:251]
	v_add_f64_e32 v[58:59], v[58:59], v[85:86]
	s_delay_alu instid0(VALU_DEP_2) | instskip(SKIP_2) | instid1(VALU_DEP_2)
	v_add_f64_e32 v[83:84], v[91:92], v[83:84]
	v_fma_f64 v[85:86], v[113:114], s[34:35], v[140:141]
	v_fma_f64 v[91:92], v[170:171], s[30:31], v[168:169]
	v_add_f64_e32 v[83:84], v[85:86], v[83:84]
	v_fma_f64 v[85:86], v[117:118], s[12:13], -v[142:143]
	s_delay_alu instid0(VALU_DEP_1) | instskip(SKIP_1) | instid1(VALU_DEP_1)
	v_add_f64_e32 v[58:59], v[85:86], v[58:59]
	v_fma_f64 v[85:86], v[146:147], s[36:37], v[144:145]
	v_add_f64_e32 v[83:84], v[85:86], v[83:84]
	v_fma_f64 v[85:86], v[152:153], s[10:11], -v[150:151]
	s_delay_alu instid0(VALU_DEP_1) | instskip(SKIP_1) | instid1(VALU_DEP_1)
	v_add_f64_e32 v[58:59], v[85:86], v[58:59]
	v_fma_f64 v[85:86], v[158:159], s[20:21], v[156:157]
	v_add_f64_e32 v[85:86], v[85:86], v[83:84]
	v_fma_f64 v[83:84], v[164:165], s[14:15], -v[162:163]
	s_delay_alu instid0(VALU_DEP_2) | instskip(NEXT) | instid1(VALU_DEP_2)
	v_add_f64_e32 v[85:86], v[91:92], v[85:86]
	v_add_f64_e32 v[83:84], v[83:84], v[58:59]
	v_fma_f64 v[58:59], v[67:68], s[14:15], -v[230:231]
	v_fma_f64 v[91:92], v[170:171], s[20:21], v[254:255]
	s_delay_alu instid0(VALU_DEP_2) | instskip(SKIP_1) | instid1(VALU_DEP_1)
	v_add_f64_e32 v[58:59], v[58:59], v[81:82]
	v_fma_f64 v[81:82], v[87:88], s[30:31], v[236:237]
	v_add_f64_e32 v[79:80], v[81:82], v[79:80]
	v_fma_f64 v[81:82], v[93:94], s[12:13], -v[238:239]
	s_delay_alu instid0(VALU_DEP_1) | instskip(SKIP_1) | instid1(VALU_DEP_1)
	v_add_f64_e32 v[58:59], v[81:82], v[58:59]
	v_fma_f64 v[81:82], v[113:114], s[26:27], v[240:241]
	v_add_f64_e32 v[79:80], v[81:82], v[79:80]
	v_fma_f64 v[81:82], v[117:118], s[2:3], -v[242:243]
	s_delay_alu instid0(VALU_DEP_1) | instskip(SKIP_1) | instid1(VALU_DEP_1)
	v_add_f64_e32 v[58:59], v[81:82], v[58:59]
	v_fma_f64 v[81:82], v[146:147], s[18:19], v[244:245]
	v_add_f64_e32 v[79:80], v[81:82], v[79:80]
	v_fma_f64 v[81:82], v[152:153], s[16:17], -v[246:247]
	s_delay_alu instid0(VALU_DEP_1) | instskip(SKIP_1) | instid1(VALU_DEP_1)
	v_add_f64_e32 v[58:59], v[81:82], v[58:59]
	v_fma_f64 v[81:82], v[158:159], s[38:39], v[248:249]
	v_add_f64_e32 v[81:82], v[81:82], v[79:80]
	v_fma_f64 v[79:80], v[164:165], s[10:11], -v[252:253]
	s_delay_alu instid0(VALU_DEP_2) | instskip(NEXT) | instid1(VALU_DEP_2)
	v_add_f64_e32 v[81:82], v[91:92], v[81:82]
	v_add_f64_e32 v[79:80], v[79:80], v[58:59]
	v_fma_f64 v[58:59], v[67:68], s[6:7], -v[210:211]
	v_fma_f64 v[91:92], v[170:171], s[36:37], v[234:235]
	s_delay_alu instid0(VALU_DEP_2) | instskip(SKIP_1) | instid1(VALU_DEP_1)
	v_add_f64_e32 v[58:59], v[58:59], v[77:78]
	v_fma_f64 v[77:78], v[87:88], s[24:25], v[216:217]
	v_add_f64_e32 v[75:76], v[77:78], v[75:76]
	v_fma_f64 v[77:78], v[93:94], s[16:17], -v[218:219]
	s_delay_alu instid0(VALU_DEP_1) | instskip(SKIP_1) | instid1(VALU_DEP_1)
	v_add_f64_e32 v[58:59], v[77:78], v[58:59]
	;; [unrolled: 25-line block ×4, first 2 shown]
	v_fma_f64 v[58:59], v[113:114], s[22:23], v[180:181]
	v_add_f64_e32 v[52:53], v[58:59], v[52:53]
	v_fma_f64 v[58:59], v[117:118], s[6:7], -v[182:183]
	s_delay_alu instid0(VALU_DEP_1) | instskip(SKIP_1) | instid1(VALU_DEP_1)
	v_add_f64_e32 v[54:55], v[58:59], v[54:55]
	v_fma_f64 v[58:59], v[146:147], s[24:25], v[184:185]
	v_add_f64_e32 v[52:53], v[58:59], v[52:53]
	v_fma_f64 v[58:59], v[152:153], s[14:15], -v[186:187]
	s_delay_alu instid0(VALU_DEP_1) | instskip(SKIP_1) | instid1(VALU_DEP_1)
	v_add_f64_e32 v[54:55], v[58:59], v[54:55]
	v_fma_f64 v[58:59], v[158:159], s[30:31], v[188:189]
	v_add_f64_e32 v[58:59], v[58:59], v[52:53]
	v_fma_f64 v[52:53], v[164:165], s[16:17], -v[192:193]
	s_delay_alu instid0(VALU_DEP_1) | instskip(NEXT) | instid1(VALU_DEP_3)
	v_add_f64_e32 v[52:53], v[52:53], v[54:55]
	v_add_f64_e32 v[54:55], v[91:92], v[58:59]
	v_fma_f64 v[58:59], v[67:68], s[12:13], v[69:70]
	v_fma_f64 v[67:68], v[87:88], s[36:37], v[89:90]
	;; [unrolled: 1-line block ×4, first 2 shown]
	s_delay_alu instid0(VALU_DEP_4) | instskip(NEXT) | instid1(VALU_DEP_4)
	v_add_f64_e32 v[48:49], v[58:59], v[48:49]
	v_add_f64_e32 v[50:51], v[67:68], v[50:51]
	v_fma_f64 v[58:59], v[117:118], s[10:11], v[119:120]
	v_fma_f64 v[67:68], v[146:147], s[28:29], v[148:149]
	s_delay_alu instid0(VALU_DEP_4) | instskip(NEXT) | instid1(VALU_DEP_4)
	v_add_f64_e32 v[48:49], v[69:70], v[48:49]
	v_add_f64_e32 v[50:51], v[87:88], v[50:51]
	v_fma_f64 v[69:70], v[152:153], s[6:7], v[154:155]
	v_fma_f64 v[87:88], v[158:159], s[24:25], v[160:161]
	;; [unrolled: 5-line block ×3, first 2 shown]
	s_mov_b32 s2, exec_lo
	s_delay_alu instid0(VALU_DEP_4) | instskip(NEXT) | instid1(VALU_DEP_4)
	v_add_f64_e32 v[48:49], v[69:70], v[48:49]
	v_add_f64_e32 v[50:51], v[87:88], v[50:51]
	s_delay_alu instid0(VALU_DEP_2) | instskip(NEXT) | instid1(VALU_DEP_2)
	v_add_f64_e32 v[48:49], v[58:59], v[48:49]
	v_add_f64_e32 v[50:51], v[67:68], v[50:51]
	ds_store_b128 v57, v[121:124] offset:832
	ds_store_b128 v57, v[109:112] offset:1248
	;; [unrolled: 1-line block ×12, first 2 shown]
	ds_store_b128 v57, v[2:5]
	global_wb scope:SCOPE_SE
	s_wait_dscnt 0x0
	s_barrier_signal -1
	s_barrier_wait -1
	global_inv scope:SCOPE_SE
	ds_load_b128 v[4:7], v125
                                        ; implicit-def: $vgpr2_vgpr3
	v_cmpx_ne_u32_e32 0, v56
	s_wait_alu 0xfffe
	s_xor_b32 s2, exec_lo, s2
	s_cbranch_execz .LBB0_19
; %bb.18:
	v_mov_b32_e32 v57, 0
	s_delay_alu instid0(VALU_DEP_1) | instskip(NEXT) | instid1(VALU_DEP_1)
	v_lshlrev_b64_e32 v[0:1], 4, v[56:57]
	v_add_co_u32 v0, s1, s4, v0
	s_wait_alu 0xf1ff
	s_delay_alu instid0(VALU_DEP_2)
	v_add_co_ci_u32_e64 v1, s1, s5, v1, s1
	global_load_b128 v[11:14], v[0:1], off offset:5200
	ds_load_b128 v[0:3], v10 offset:5408
	s_wait_dscnt 0x0
	v_add_f64_e64 v[8:9], v[4:5], -v[0:1]
	v_add_f64_e32 v[15:16], v[6:7], v[2:3]
	v_add_f64_e64 v[2:3], v[6:7], -v[2:3]
	v_add_f64_e32 v[0:1], v[4:5], v[0:1]
	s_delay_alu instid0(VALU_DEP_4) | instskip(NEXT) | instid1(VALU_DEP_4)
	v_mul_f64_e32 v[6:7], 0.5, v[8:9]
	v_mul_f64_e32 v[4:5], 0.5, v[15:16]
	s_delay_alu instid0(VALU_DEP_4) | instskip(SKIP_1) | instid1(VALU_DEP_3)
	v_mul_f64_e32 v[2:3], 0.5, v[2:3]
	s_wait_loadcnt 0x0
	v_mul_f64_e32 v[8:9], v[6:7], v[13:14]
	s_delay_alu instid0(VALU_DEP_2) | instskip(SKIP_1) | instid1(VALU_DEP_3)
	v_fma_f64 v[15:16], v[4:5], v[13:14], v[2:3]
	v_fma_f64 v[2:3], v[4:5], v[13:14], -v[2:3]
	v_fma_f64 v[17:18], v[0:1], 0.5, v[8:9]
	v_fma_f64 v[0:1], v[0:1], 0.5, -v[8:9]
	s_delay_alu instid0(VALU_DEP_4) | instskip(NEXT) | instid1(VALU_DEP_4)
	v_fma_f64 v[8:9], -v[11:12], v[6:7], v[15:16]
	v_fma_f64 v[2:3], -v[11:12], v[6:7], v[2:3]
	s_delay_alu instid0(VALU_DEP_4) | instskip(NEXT) | instid1(VALU_DEP_4)
	v_fma_f64 v[13:14], v[4:5], v[11:12], v[17:18]
	v_fma_f64 v[0:1], -v[4:5], v[11:12], v[0:1]
                                        ; implicit-def: $vgpr4_vgpr5
	ds_store_b64 v125, v[13:14]
.LBB0_19:
	s_wait_alu 0xfffe
	s_and_not1_saveexec_b32 s1, s2
	s_cbranch_execz .LBB0_21
; %bb.20:
	s_wait_dscnt 0x0
	v_add_f64_e32 v[11:12], v[4:5], v[6:7]
	v_add_f64_e64 v[0:1], v[4:5], -v[6:7]
	ds_load_b64 v[4:5], v126 offset:2712
	v_mov_b32_e32 v8, 0
	v_mov_b32_e32 v9, 0
	s_delay_alu instid0(VALU_DEP_1)
	v_dual_mov_b32 v2, v8 :: v_dual_mov_b32 v3, v9
	s_wait_dscnt 0x0
	v_xor_b32_e32 v5, 0x80000000, v5
	ds_store_b64 v125, v[11:12]
	ds_store_b64 v126, v[4:5] offset:2712
.LBB0_21:
	s_wait_alu 0xfffe
	s_or_b32 exec_lo, exec_lo, s1
	v_mov_b32_e32 v62, 0
	s_wait_dscnt 0x0
	s_delay_alu instid0(VALU_DEP_1) | instskip(SKIP_1) | instid1(VALU_DEP_1)
	v_lshlrev_b64_e32 v[4:5], 4, v[61:62]
	v_mov_b32_e32 v67, v62
	v_lshlrev_b64_e32 v[11:12], 4, v[66:67]
	v_mov_b32_e32 v66, v62
	s_delay_alu instid0(VALU_DEP_4) | instskip(SKIP_2) | instid1(VALU_DEP_4)
	v_add_co_u32 v4, s1, s4, v4
	s_wait_alu 0xf1ff
	v_add_co_ci_u32_e64 v5, s1, s5, v5, s1
	v_add_co_u32 v11, s1, s4, v11
	s_wait_alu 0xf1ff
	v_add_co_ci_u32_e64 v12, s1, s5, v12, s1
	s_clause 0x1
	global_load_b128 v[4:7], v[4:5], off offset:5200
	global_load_b128 v[11:14], v[11:12], off offset:5200
	ds_store_b64 v125, v[8:9] offset:8
	ds_store_b128 v10, v[0:3] offset:5408
	ds_load_b128 v[0:3], v131
	ds_load_b128 v[15:18], v10 offset:4992
	s_wait_dscnt 0x0
	v_add_f64_e64 v[8:9], v[0:1], -v[15:16]
	v_add_f64_e32 v[19:20], v[2:3], v[17:18]
	v_add_f64_e64 v[2:3], v[2:3], -v[17:18]
	v_add_f64_e32 v[0:1], v[0:1], v[15:16]
	s_delay_alu instid0(VALU_DEP_4) | instskip(NEXT) | instid1(VALU_DEP_4)
	v_mul_f64_e32 v[8:9], 0.5, v[8:9]
	v_mul_f64_e32 v[17:18], 0.5, v[19:20]
	s_delay_alu instid0(VALU_DEP_4) | instskip(SKIP_1) | instid1(VALU_DEP_3)
	v_mul_f64_e32 v[2:3], 0.5, v[2:3]
	s_wait_loadcnt 0x1
	v_mul_f64_e32 v[15:16], v[8:9], v[6:7]
	s_delay_alu instid0(VALU_DEP_2) | instskip(SKIP_1) | instid1(VALU_DEP_3)
	v_fma_f64 v[19:20], v[17:18], v[6:7], v[2:3]
	v_fma_f64 v[6:7], v[17:18], v[6:7], -v[2:3]
	v_fma_f64 v[21:22], v[0:1], 0.5, v[15:16]
	v_fma_f64 v[15:16], v[0:1], 0.5, -v[15:16]
	s_delay_alu instid0(VALU_DEP_4) | instskip(NEXT) | instid1(VALU_DEP_4)
	v_fma_f64 v[2:3], -v[4:5], v[8:9], v[19:20]
	v_fma_f64 v[6:7], -v[4:5], v[8:9], v[6:7]
	v_lshlrev_b64_e32 v[8:9], 4, v[65:66]
	v_mov_b32_e32 v65, v62
	s_delay_alu instid0(VALU_DEP_2) | instskip(SKIP_1) | instid1(VALU_DEP_3)
	v_add_co_u32 v8, s1, s4, v8
	s_wait_alu 0xf1ff
	v_add_co_ci_u32_e64 v9, s1, s5, v9, s1
	v_fma_f64 v[0:1], v[17:18], v[4:5], v[21:22]
	v_fma_f64 v[4:5], -v[17:18], v[4:5], v[15:16]
	global_load_b128 v[15:18], v[8:9], off offset:5200
	ds_store_b128 v131, v[0:3]
	ds_store_b128 v10, v[4:7] offset:4992
	ds_load_b128 v[0:3], v130
	ds_load_b128 v[4:7], v10 offset:4576
	s_wait_dscnt 0x0
	v_add_f64_e64 v[8:9], v[0:1], -v[4:5]
	v_add_f64_e32 v[19:20], v[2:3], v[6:7]
	v_add_f64_e64 v[2:3], v[2:3], -v[6:7]
	v_add_f64_e32 v[0:1], v[0:1], v[4:5]
	s_delay_alu instid0(VALU_DEP_4) | instskip(NEXT) | instid1(VALU_DEP_4)
	v_mul_f64_e32 v[6:7], 0.5, v[8:9]
	v_mul_f64_e32 v[8:9], 0.5, v[19:20]
	s_delay_alu instid0(VALU_DEP_4) | instskip(SKIP_1) | instid1(VALU_DEP_3)
	v_mul_f64_e32 v[2:3], 0.5, v[2:3]
	s_wait_loadcnt 0x1
	v_mul_f64_e32 v[4:5], v[6:7], v[13:14]
	s_delay_alu instid0(VALU_DEP_2) | instskip(SKIP_1) | instid1(VALU_DEP_3)
	v_fma_f64 v[19:20], v[8:9], v[13:14], v[2:3]
	v_fma_f64 v[13:14], v[8:9], v[13:14], -v[2:3]
	v_fma_f64 v[21:22], v[0:1], 0.5, v[4:5]
	v_fma_f64 v[4:5], v[0:1], 0.5, -v[4:5]
	s_delay_alu instid0(VALU_DEP_4) | instskip(NEXT) | instid1(VALU_DEP_4)
	v_fma_f64 v[2:3], -v[11:12], v[6:7], v[19:20]
	v_fma_f64 v[6:7], -v[11:12], v[6:7], v[13:14]
	s_delay_alu instid0(VALU_DEP_4) | instskip(NEXT) | instid1(VALU_DEP_4)
	v_fma_f64 v[0:1], v[8:9], v[11:12], v[21:22]
	v_fma_f64 v[4:5], -v[8:9], v[11:12], v[4:5]
	v_lshlrev_b64_e32 v[8:9], 4, v[64:65]
	v_mov_b32_e32 v64, v62
	s_delay_alu instid0(VALU_DEP_2) | instskip(SKIP_1) | instid1(VALU_DEP_3)
	v_add_co_u32 v8, s1, s4, v8
	s_wait_alu 0xf1ff
	v_add_co_ci_u32_e64 v9, s1, s5, v9, s1
	global_load_b128 v[11:14], v[8:9], off offset:5200
	ds_store_b128 v130, v[0:3]
	ds_store_b128 v10, v[4:7] offset:4576
	ds_load_b128 v[0:3], v129
	ds_load_b128 v[4:7], v10 offset:4160
	s_wait_dscnt 0x0
	v_add_f64_e64 v[8:9], v[0:1], -v[4:5]
	v_add_f64_e32 v[19:20], v[2:3], v[6:7]
	v_add_f64_e64 v[2:3], v[2:3], -v[6:7]
	v_add_f64_e32 v[0:1], v[0:1], v[4:5]
	s_delay_alu instid0(VALU_DEP_4) | instskip(NEXT) | instid1(VALU_DEP_4)
	v_mul_f64_e32 v[6:7], 0.5, v[8:9]
	v_mul_f64_e32 v[8:9], 0.5, v[19:20]
	s_delay_alu instid0(VALU_DEP_4) | instskip(SKIP_1) | instid1(VALU_DEP_3)
	v_mul_f64_e32 v[2:3], 0.5, v[2:3]
	s_wait_loadcnt 0x1
	v_mul_f64_e32 v[4:5], v[6:7], v[17:18]
	s_delay_alu instid0(VALU_DEP_2) | instskip(SKIP_1) | instid1(VALU_DEP_3)
	v_fma_f64 v[19:20], v[8:9], v[17:18], v[2:3]
	v_fma_f64 v[17:18], v[8:9], v[17:18], -v[2:3]
	v_fma_f64 v[21:22], v[0:1], 0.5, v[4:5]
	v_fma_f64 v[4:5], v[0:1], 0.5, -v[4:5]
	s_delay_alu instid0(VALU_DEP_4) | instskip(NEXT) | instid1(VALU_DEP_4)
	v_fma_f64 v[2:3], -v[15:16], v[6:7], v[19:20]
	v_fma_f64 v[6:7], -v[15:16], v[6:7], v[17:18]
	s_delay_alu instid0(VALU_DEP_4) | instskip(NEXT) | instid1(VALU_DEP_4)
	v_fma_f64 v[0:1], v[8:9], v[15:16], v[21:22]
	v_fma_f64 v[4:5], -v[8:9], v[15:16], v[4:5]
	v_lshlrev_b64_e32 v[8:9], 4, v[63:64]
	s_delay_alu instid0(VALU_DEP_1) | instskip(SKIP_1) | instid1(VALU_DEP_2)
	v_add_co_u32 v8, s1, s4, v8
	s_wait_alu 0xf1ff
	v_add_co_ci_u32_e64 v9, s1, s5, v9, s1
	global_load_b128 v[15:18], v[8:9], off offset:5200
	ds_store_b128 v129, v[0:3]
	ds_store_b128 v10, v[4:7] offset:4160
	ds_load_b128 v[0:3], v128
	ds_load_b128 v[4:7], v10 offset:3744
	s_wait_dscnt 0x0
	v_add_f64_e64 v[8:9], v[0:1], -v[4:5]
	v_add_f64_e32 v[19:20], v[2:3], v[6:7]
	v_add_f64_e64 v[2:3], v[2:3], -v[6:7]
	v_add_f64_e32 v[0:1], v[0:1], v[4:5]
	s_delay_alu instid0(VALU_DEP_4) | instskip(NEXT) | instid1(VALU_DEP_4)
	v_mul_f64_e32 v[6:7], 0.5, v[8:9]
	v_mul_f64_e32 v[8:9], 0.5, v[19:20]
	s_delay_alu instid0(VALU_DEP_4) | instskip(SKIP_1) | instid1(VALU_DEP_3)
	v_mul_f64_e32 v[2:3], 0.5, v[2:3]
	s_wait_loadcnt 0x1
	v_mul_f64_e32 v[4:5], v[6:7], v[13:14]
	s_delay_alu instid0(VALU_DEP_2) | instskip(SKIP_1) | instid1(VALU_DEP_3)
	v_fma_f64 v[19:20], v[8:9], v[13:14], v[2:3]
	v_fma_f64 v[13:14], v[8:9], v[13:14], -v[2:3]
	v_fma_f64 v[21:22], v[0:1], 0.5, v[4:5]
	v_fma_f64 v[4:5], v[0:1], 0.5, -v[4:5]
	s_delay_alu instid0(VALU_DEP_4) | instskip(NEXT) | instid1(VALU_DEP_4)
	v_fma_f64 v[2:3], -v[11:12], v[6:7], v[19:20]
	v_fma_f64 v[6:7], -v[11:12], v[6:7], v[13:14]
	s_delay_alu instid0(VALU_DEP_4) | instskip(NEXT) | instid1(VALU_DEP_4)
	v_fma_f64 v[0:1], v[8:9], v[11:12], v[21:22]
	v_fma_f64 v[4:5], -v[8:9], v[11:12], v[4:5]
	ds_store_b128 v128, v[0:3]
	ds_store_b128 v10, v[4:7] offset:3744
	ds_load_b128 v[0:3], v127
	ds_load_b128 v[4:7], v10 offset:3328
	s_wait_dscnt 0x0
	v_add_f64_e64 v[8:9], v[0:1], -v[4:5]
	v_add_f64_e32 v[11:12], v[2:3], v[6:7]
	v_add_f64_e64 v[2:3], v[2:3], -v[6:7]
	v_add_f64_e32 v[0:1], v[0:1], v[4:5]
	s_delay_alu instid0(VALU_DEP_4) | instskip(NEXT) | instid1(VALU_DEP_4)
	v_mul_f64_e32 v[6:7], 0.5, v[8:9]
	v_mul_f64_e32 v[8:9], 0.5, v[11:12]
	s_delay_alu instid0(VALU_DEP_4) | instskip(SKIP_1) | instid1(VALU_DEP_3)
	v_mul_f64_e32 v[2:3], 0.5, v[2:3]
	s_wait_loadcnt 0x0
	v_mul_f64_e32 v[4:5], v[6:7], v[17:18]
	s_delay_alu instid0(VALU_DEP_2) | instskip(SKIP_1) | instid1(VALU_DEP_3)
	v_fma_f64 v[11:12], v[8:9], v[17:18], v[2:3]
	v_fma_f64 v[13:14], v[8:9], v[17:18], -v[2:3]
	v_fma_f64 v[17:18], v[0:1], 0.5, v[4:5]
	v_fma_f64 v[4:5], v[0:1], 0.5, -v[4:5]
	s_delay_alu instid0(VALU_DEP_4) | instskip(NEXT) | instid1(VALU_DEP_4)
	v_fma_f64 v[2:3], -v[15:16], v[6:7], v[11:12]
	v_fma_f64 v[6:7], -v[15:16], v[6:7], v[13:14]
	s_delay_alu instid0(VALU_DEP_4) | instskip(NEXT) | instid1(VALU_DEP_4)
	v_fma_f64 v[0:1], v[8:9], v[15:16], v[17:18]
	v_fma_f64 v[4:5], -v[8:9], v[15:16], v[4:5]
	ds_store_b128 v127, v[0:3]
	ds_store_b128 v10, v[4:7] offset:3328
	s_and_saveexec_b32 s1, s0
	s_cbranch_execz .LBB0_23
; %bb.22:
	v_mov_b32_e32 v61, v62
	v_lshl_add_u32 v17, v60, 4, v126
	s_delay_alu instid0(VALU_DEP_2) | instskip(NEXT) | instid1(VALU_DEP_1)
	v_lshlrev_b64_e32 v[0:1], 4, v[60:61]
	v_add_co_u32 v0, s0, s4, v0
	s_wait_alu 0xf1ff
	s_delay_alu instid0(VALU_DEP_2)
	v_add_co_ci_u32_e64 v1, s0, s5, v1, s0
	global_load_b128 v[0:3], v[0:1], off offset:5200
	ds_load_b128 v[4:7], v17
	ds_load_b128 v[11:14], v10 offset:2912
	s_wait_dscnt 0x0
	v_add_f64_e64 v[8:9], v[4:5], -v[11:12]
	v_add_f64_e32 v[15:16], v[6:7], v[13:14]
	v_add_f64_e64 v[6:7], v[6:7], -v[13:14]
	v_add_f64_e32 v[4:5], v[4:5], v[11:12]
	s_delay_alu instid0(VALU_DEP_4) | instskip(NEXT) | instid1(VALU_DEP_4)
	v_mul_f64_e32 v[8:9], 0.5, v[8:9]
	v_mul_f64_e32 v[13:14], 0.5, v[15:16]
	s_delay_alu instid0(VALU_DEP_4) | instskip(SKIP_1) | instid1(VALU_DEP_3)
	v_mul_f64_e32 v[6:7], 0.5, v[6:7]
	s_wait_loadcnt 0x0
	v_mul_f64_e32 v[11:12], v[8:9], v[2:3]
	s_delay_alu instid0(VALU_DEP_2) | instskip(SKIP_1) | instid1(VALU_DEP_3)
	v_fma_f64 v[15:16], v[13:14], v[2:3], v[6:7]
	v_fma_f64 v[2:3], v[13:14], v[2:3], -v[6:7]
	v_fma_f64 v[6:7], v[4:5], 0.5, v[11:12]
	v_fma_f64 v[11:12], v[4:5], 0.5, -v[11:12]
	s_delay_alu instid0(VALU_DEP_4) | instskip(NEXT) | instid1(VALU_DEP_4)
	v_fma_f64 v[4:5], -v[0:1], v[8:9], v[15:16]
	v_fma_f64 v[8:9], -v[0:1], v[8:9], v[2:3]
	s_delay_alu instid0(VALU_DEP_4) | instskip(NEXT) | instid1(VALU_DEP_4)
	v_fma_f64 v[2:3], v[13:14], v[0:1], v[6:7]
	v_fma_f64 v[6:7], -v[13:14], v[0:1], v[11:12]
	ds_store_b128 v17, v[2:5]
	ds_store_b128 v10, v[6:9] offset:2912
.LBB0_23:
	s_wait_alu 0xfffe
	s_or_b32 exec_lo, exec_lo, s1
	global_wb scope:SCOPE_SE
	s_wait_dscnt 0x0
	s_barrier_signal -1
	s_barrier_wait -1
	global_inv scope:SCOPE_SE
	s_and_saveexec_b32 s0, vcc_lo
	s_cbranch_execz .LBB0_26
; %bb.24:
	scratch_load_b64 v[0:1], off, off th:TH_LOAD_LU ; 8-byte Folded Reload
	ds_load_b128 v[2:5], v125
	ds_load_b128 v[6:9], v125 offset:416
	ds_load_b128 v[10:13], v125 offset:832
	;; [unrolled: 1-line block ×12, first 2 shown]
	v_mov_b32_e32 v57, 0
	s_delay_alu instid0(VALU_DEP_1) | instskip(SKIP_4) | instid1(VALU_DEP_2)
	v_lshlrev_b64_e32 v[54:55], 4, v[56:57]
	s_wait_loadcnt 0x0
	v_add_co_u32 v0, vcc_lo, s8, v0
	s_wait_alu 0xfffd
	v_add_co_ci_u32_e32 v1, vcc_lo, s9, v1, vcc_lo
	v_add_co_u32 v54, vcc_lo, v0, v54
	s_wait_alu 0xfffd
	s_delay_alu instid0(VALU_DEP_2)
	v_add_co_ci_u32_e32 v55, vcc_lo, v1, v55, vcc_lo
	v_cmp_eq_u32_e32 vcc_lo, 25, v56
	s_wait_dscnt 0xc
	global_store_b128 v[54:55], v[2:5], off
	s_wait_dscnt 0xb
	global_store_b128 v[54:55], v[6:9], off offset:416
	s_wait_dscnt 0xa
	global_store_b128 v[54:55], v[10:13], off offset:832
	;; [unrolled: 2-line block ×12, first 2 shown]
	s_and_b32 exec_lo, exec_lo, vcc_lo
	s_cbranch_execz .LBB0_26
; %bb.25:
	ds_load_b128 v[2:5], v125 offset:5008
	s_wait_dscnt 0x0
	global_store_b128 v[0:1], v[2:5], off offset:5408
.LBB0_26:
	s_nop 0
	s_sendmsg sendmsg(MSG_DEALLOC_VGPRS)
	s_endpgm
	.section	.rodata,"a",@progbits
	.p2align	6, 0x0
	.amdhsa_kernel fft_rtc_back_len338_factors_13_2_13_wgs_52_tpt_26_halfLds_dp_ip_CI_unitstride_sbrr_R2C_dirReg
		.amdhsa_group_segment_fixed_size 0
		.amdhsa_private_segment_fixed_size 12
		.amdhsa_kernarg_size 88
		.amdhsa_user_sgpr_count 2
		.amdhsa_user_sgpr_dispatch_ptr 0
		.amdhsa_user_sgpr_queue_ptr 0
		.amdhsa_user_sgpr_kernarg_segment_ptr 1
		.amdhsa_user_sgpr_dispatch_id 0
		.amdhsa_user_sgpr_private_segment_size 0
		.amdhsa_wavefront_size32 1
		.amdhsa_uses_dynamic_stack 0
		.amdhsa_enable_private_segment 1
		.amdhsa_system_sgpr_workgroup_id_x 1
		.amdhsa_system_sgpr_workgroup_id_y 0
		.amdhsa_system_sgpr_workgroup_id_z 0
		.amdhsa_system_sgpr_workgroup_info 0
		.amdhsa_system_vgpr_workitem_id 0
		.amdhsa_next_free_vgpr 256
		.amdhsa_next_free_sgpr 44
		.amdhsa_reserve_vcc 1
		.amdhsa_float_round_mode_32 0
		.amdhsa_float_round_mode_16_64 0
		.amdhsa_float_denorm_mode_32 3
		.amdhsa_float_denorm_mode_16_64 3
		.amdhsa_fp16_overflow 0
		.amdhsa_workgroup_processor_mode 1
		.amdhsa_memory_ordered 1
		.amdhsa_forward_progress 0
		.amdhsa_round_robin_scheduling 0
		.amdhsa_exception_fp_ieee_invalid_op 0
		.amdhsa_exception_fp_denorm_src 0
		.amdhsa_exception_fp_ieee_div_zero 0
		.amdhsa_exception_fp_ieee_overflow 0
		.amdhsa_exception_fp_ieee_underflow 0
		.amdhsa_exception_fp_ieee_inexact 0
		.amdhsa_exception_int_div_zero 0
	.end_amdhsa_kernel
	.text
.Lfunc_end0:
	.size	fft_rtc_back_len338_factors_13_2_13_wgs_52_tpt_26_halfLds_dp_ip_CI_unitstride_sbrr_R2C_dirReg, .Lfunc_end0-fft_rtc_back_len338_factors_13_2_13_wgs_52_tpt_26_halfLds_dp_ip_CI_unitstride_sbrr_R2C_dirReg
                                        ; -- End function
	.section	.AMDGPU.csdata,"",@progbits
; Kernel info:
; codeLenInByte = 12016
; NumSgprs: 46
; NumVgprs: 256
; ScratchSize: 12
; MemoryBound: 0
; FloatMode: 240
; IeeeMode: 1
; LDSByteSize: 0 bytes/workgroup (compile time only)
; SGPRBlocks: 5
; VGPRBlocks: 31
; NumSGPRsForWavesPerEU: 46
; NumVGPRsForWavesPerEU: 256
; Occupancy: 5
; WaveLimiterHint : 1
; COMPUTE_PGM_RSRC2:SCRATCH_EN: 1
; COMPUTE_PGM_RSRC2:USER_SGPR: 2
; COMPUTE_PGM_RSRC2:TRAP_HANDLER: 0
; COMPUTE_PGM_RSRC2:TGID_X_EN: 1
; COMPUTE_PGM_RSRC2:TGID_Y_EN: 0
; COMPUTE_PGM_RSRC2:TGID_Z_EN: 0
; COMPUTE_PGM_RSRC2:TIDIG_COMP_CNT: 0
	.text
	.p2alignl 7, 3214868480
	.fill 96, 4, 3214868480
	.type	__hip_cuid_7c656304ba5fecf1,@object ; @__hip_cuid_7c656304ba5fecf1
	.section	.bss,"aw",@nobits
	.globl	__hip_cuid_7c656304ba5fecf1
__hip_cuid_7c656304ba5fecf1:
	.byte	0                               ; 0x0
	.size	__hip_cuid_7c656304ba5fecf1, 1

	.ident	"AMD clang version 19.0.0git (https://github.com/RadeonOpenCompute/llvm-project roc-6.4.0 25133 c7fe45cf4b819c5991fe208aaa96edf142730f1d)"
	.section	".note.GNU-stack","",@progbits
	.addrsig
	.addrsig_sym __hip_cuid_7c656304ba5fecf1
	.amdgpu_metadata
---
amdhsa.kernels:
  - .args:
      - .actual_access:  read_only
        .address_space:  global
        .offset:         0
        .size:           8
        .value_kind:     global_buffer
      - .offset:         8
        .size:           8
        .value_kind:     by_value
      - .actual_access:  read_only
        .address_space:  global
        .offset:         16
        .size:           8
        .value_kind:     global_buffer
      - .actual_access:  read_only
        .address_space:  global
        .offset:         24
        .size:           8
        .value_kind:     global_buffer
      - .offset:         32
        .size:           8
        .value_kind:     by_value
      - .actual_access:  read_only
        .address_space:  global
        .offset:         40
        .size:           8
        .value_kind:     global_buffer
      - .actual_access:  read_only
        .address_space:  global
        .offset:         48
        .size:           8
        .value_kind:     global_buffer
      - .offset:         56
        .size:           4
        .value_kind:     by_value
      - .actual_access:  read_only
        .address_space:  global
        .offset:         64
        .size:           8
        .value_kind:     global_buffer
      - .actual_access:  read_only
        .address_space:  global
        .offset:         72
        .size:           8
        .value_kind:     global_buffer
      - .address_space:  global
        .offset:         80
        .size:           8
        .value_kind:     global_buffer
    .group_segment_fixed_size: 0
    .kernarg_segment_align: 8
    .kernarg_segment_size: 88
    .language:       OpenCL C
    .language_version:
      - 2
      - 0
    .max_flat_workgroup_size: 52
    .name:           fft_rtc_back_len338_factors_13_2_13_wgs_52_tpt_26_halfLds_dp_ip_CI_unitstride_sbrr_R2C_dirReg
    .private_segment_fixed_size: 12
    .sgpr_count:     46
    .sgpr_spill_count: 0
    .symbol:         fft_rtc_back_len338_factors_13_2_13_wgs_52_tpt_26_halfLds_dp_ip_CI_unitstride_sbrr_R2C_dirReg.kd
    .uniform_work_group_size: 1
    .uses_dynamic_stack: false
    .vgpr_count:     256
    .vgpr_spill_count: 2
    .wavefront_size: 32
    .workgroup_processor_mode: 1
amdhsa.target:   amdgcn-amd-amdhsa--gfx1201
amdhsa.version:
  - 1
  - 2
...

	.end_amdgpu_metadata
